;; amdgpu-corpus repo=ROCm/rocFFT kind=compiled arch=gfx906 opt=O3
	.text
	.amdgcn_target "amdgcn-amd-amdhsa--gfx906"
	.amdhsa_code_object_version 6
	.protected	fft_rtc_back_len408_factors_17_3_8_wgs_51_tpt_17_halfLds_sp_op_CI_CI_unitstride_sbrr_dirReg ; -- Begin function fft_rtc_back_len408_factors_17_3_8_wgs_51_tpt_17_halfLds_sp_op_CI_CI_unitstride_sbrr_dirReg
	.globl	fft_rtc_back_len408_factors_17_3_8_wgs_51_tpt_17_halfLds_sp_op_CI_CI_unitstride_sbrr_dirReg
	.p2align	8
	.type	fft_rtc_back_len408_factors_17_3_8_wgs_51_tpt_17_halfLds_sp_op_CI_CI_unitstride_sbrr_dirReg,@function
fft_rtc_back_len408_factors_17_3_8_wgs_51_tpt_17_halfLds_sp_op_CI_CI_unitstride_sbrr_dirReg: ; @fft_rtc_back_len408_factors_17_3_8_wgs_51_tpt_17_halfLds_sp_op_CI_CI_unitstride_sbrr_dirReg
; %bb.0:
	v_mul_u32_u24_e32 v1, 0xf10, v0
	s_load_dwordx4 s[8:11], s[4:5], 0x58
	s_load_dwordx4 s[12:15], s[4:5], 0x0
	;; [unrolled: 1-line block ×3, first 2 shown]
	v_lshrrev_b32_e32 v1, 16, v1
	v_mad_u64_u32 v[73:74], s[0:1], s6, 3, v[1:2]
	v_mov_b32_e32 v5, 0
	s_waitcnt lgkmcnt(0)
	v_cmp_lt_u64_e64 s[0:1], s[14:15], 2
	v_mov_b32_e32 v75, 0
	v_mov_b32_e32 v74, v5
	;; [unrolled: 1-line block ×5, first 2 shown]
	s_and_b64 vcc, exec, s[0:1]
	v_mov_b32_e32 v2, v76
	v_mov_b32_e32 v4, v74
	s_cbranch_vccnz .LBB0_8
; %bb.1:
	s_load_dwordx2 s[0:1], s[4:5], 0x10
	s_add_u32 s2, s18, 8
	s_addc_u32 s3, s19, 0
	s_add_u32 s6, s16, 8
	s_addc_u32 s7, s17, 0
	v_mov_b32_e32 v75, 0
	s_waitcnt lgkmcnt(0)
	s_add_u32 s20, s0, 8
	v_mov_b32_e32 v76, 0
	v_mov_b32_e32 v1, v75
	;; [unrolled: 1-line block ×3, first 2 shown]
	s_addc_u32 s21, s1, 0
	s_mov_b64 s[22:23], 1
	v_mov_b32_e32 v2, v76
	v_mov_b32_e32 v8, v74
.LBB0_2:                                ; =>This Inner Loop Header: Depth=1
	s_load_dwordx2 s[24:25], s[20:21], 0x0
                                        ; implicit-def: $vgpr3_vgpr4
	s_waitcnt lgkmcnt(0)
	v_or_b32_e32 v6, s25, v8
	v_cmp_ne_u64_e32 vcc, 0, v[5:6]
	s_and_saveexec_b64 s[0:1], vcc
	s_xor_b64 s[26:27], exec, s[0:1]
	s_cbranch_execz .LBB0_4
; %bb.3:                                ;   in Loop: Header=BB0_2 Depth=1
	v_cvt_f32_u32_e32 v3, s24
	v_cvt_f32_u32_e32 v4, s25
	s_sub_u32 s0, 0, s24
	s_subb_u32 s1, 0, s25
	v_mac_f32_e32 v3, 0x4f800000, v4
	v_rcp_f32_e32 v3, v3
	v_mul_f32_e32 v3, 0x5f7ffffc, v3
	v_mul_f32_e32 v4, 0x2f800000, v3
	v_trunc_f32_e32 v4, v4
	v_mac_f32_e32 v3, 0xcf800000, v4
	v_cvt_u32_f32_e32 v4, v4
	v_cvt_u32_f32_e32 v3, v3
	v_mul_lo_u32 v6, s0, v4
	v_mul_hi_u32 v9, s0, v3
	v_mul_lo_u32 v11, s1, v3
	v_mul_lo_u32 v10, s0, v3
	v_add_u32_e32 v6, v9, v6
	v_add_u32_e32 v6, v6, v11
	v_mul_hi_u32 v9, v3, v10
	v_mul_lo_u32 v11, v3, v6
	v_mul_hi_u32 v13, v3, v6
	v_mul_hi_u32 v12, v4, v10
	v_mul_lo_u32 v10, v4, v10
	v_mul_hi_u32 v14, v4, v6
	v_add_co_u32_e32 v9, vcc, v9, v11
	v_addc_co_u32_e32 v11, vcc, 0, v13, vcc
	v_mul_lo_u32 v6, v4, v6
	v_add_co_u32_e32 v9, vcc, v9, v10
	v_addc_co_u32_e32 v9, vcc, v11, v12, vcc
	v_addc_co_u32_e32 v10, vcc, 0, v14, vcc
	v_add_co_u32_e32 v6, vcc, v9, v6
	v_addc_co_u32_e32 v9, vcc, 0, v10, vcc
	v_add_co_u32_e32 v3, vcc, v3, v6
	v_addc_co_u32_e32 v4, vcc, v4, v9, vcc
	v_mul_lo_u32 v6, s0, v4
	v_mul_hi_u32 v9, s0, v3
	v_mul_lo_u32 v10, s1, v3
	v_mul_lo_u32 v11, s0, v3
	v_add_u32_e32 v6, v9, v6
	v_add_u32_e32 v6, v6, v10
	v_mul_lo_u32 v12, v3, v6
	v_mul_hi_u32 v13, v3, v11
	v_mul_hi_u32 v14, v3, v6
	;; [unrolled: 1-line block ×3, first 2 shown]
	v_mul_lo_u32 v11, v4, v11
	v_mul_hi_u32 v9, v4, v6
	v_add_co_u32_e32 v12, vcc, v13, v12
	v_addc_co_u32_e32 v13, vcc, 0, v14, vcc
	v_mul_lo_u32 v6, v4, v6
	v_add_co_u32_e32 v11, vcc, v12, v11
	v_addc_co_u32_e32 v10, vcc, v13, v10, vcc
	v_addc_co_u32_e32 v9, vcc, 0, v9, vcc
	v_add_co_u32_e32 v6, vcc, v10, v6
	v_addc_co_u32_e32 v9, vcc, 0, v9, vcc
	v_add_co_u32_e32 v6, vcc, v3, v6
	v_addc_co_u32_e32 v9, vcc, v4, v9, vcc
	v_mad_u64_u32 v[3:4], s[0:1], v7, v9, 0
	v_mul_hi_u32 v10, v7, v6
	v_add_co_u32_e32 v11, vcc, v10, v3
	v_addc_co_u32_e32 v12, vcc, 0, v4, vcc
	v_mad_u64_u32 v[3:4], s[0:1], v8, v6, 0
	v_mad_u64_u32 v[9:10], s[0:1], v8, v9, 0
	v_add_co_u32_e32 v3, vcc, v11, v3
	v_addc_co_u32_e32 v3, vcc, v12, v4, vcc
	v_addc_co_u32_e32 v4, vcc, 0, v10, vcc
	v_add_co_u32_e32 v6, vcc, v3, v9
	v_addc_co_u32_e32 v9, vcc, 0, v4, vcc
	v_mul_lo_u32 v10, s25, v6
	v_mul_lo_u32 v11, s24, v9
	v_mad_u64_u32 v[3:4], s[0:1], s24, v6, 0
	v_add3_u32 v4, v4, v11, v10
	v_sub_u32_e32 v10, v8, v4
	v_mov_b32_e32 v11, s25
	v_sub_co_u32_e32 v3, vcc, v7, v3
	v_subb_co_u32_e64 v10, s[0:1], v10, v11, vcc
	v_subrev_co_u32_e64 v11, s[0:1], s24, v3
	v_subbrev_co_u32_e64 v10, s[0:1], 0, v10, s[0:1]
	v_cmp_le_u32_e64 s[0:1], s25, v10
	v_cndmask_b32_e64 v12, 0, -1, s[0:1]
	v_cmp_le_u32_e64 s[0:1], s24, v11
	v_cndmask_b32_e64 v11, 0, -1, s[0:1]
	v_cmp_eq_u32_e64 s[0:1], s25, v10
	v_cndmask_b32_e64 v10, v12, v11, s[0:1]
	v_add_co_u32_e64 v11, s[0:1], 2, v6
	v_addc_co_u32_e64 v12, s[0:1], 0, v9, s[0:1]
	v_add_co_u32_e64 v13, s[0:1], 1, v6
	v_addc_co_u32_e64 v14, s[0:1], 0, v9, s[0:1]
	v_subb_co_u32_e32 v4, vcc, v8, v4, vcc
	v_cmp_ne_u32_e64 s[0:1], 0, v10
	v_cmp_le_u32_e32 vcc, s25, v4
	v_cndmask_b32_e64 v10, v14, v12, s[0:1]
	v_cndmask_b32_e64 v12, 0, -1, vcc
	v_cmp_le_u32_e32 vcc, s24, v3
	v_cndmask_b32_e64 v3, 0, -1, vcc
	v_cmp_eq_u32_e32 vcc, s25, v4
	v_cndmask_b32_e32 v3, v12, v3, vcc
	v_cmp_ne_u32_e32 vcc, 0, v3
	v_cndmask_b32_e64 v3, v13, v11, s[0:1]
	v_cndmask_b32_e32 v4, v9, v10, vcc
	v_cndmask_b32_e32 v3, v6, v3, vcc
.LBB0_4:                                ;   in Loop: Header=BB0_2 Depth=1
	s_andn2_saveexec_b64 s[0:1], s[26:27]
	s_cbranch_execz .LBB0_6
; %bb.5:                                ;   in Loop: Header=BB0_2 Depth=1
	v_cvt_f32_u32_e32 v3, s24
	s_sub_i32 s26, 0, s24
	v_rcp_iflag_f32_e32 v3, v3
	v_mul_f32_e32 v3, 0x4f7ffffe, v3
	v_cvt_u32_f32_e32 v3, v3
	v_mul_lo_u32 v4, s26, v3
	v_mul_hi_u32 v4, v3, v4
	v_add_u32_e32 v3, v3, v4
	v_mul_hi_u32 v3, v7, v3
	v_mul_lo_u32 v4, v3, s24
	v_add_u32_e32 v6, 1, v3
	v_sub_u32_e32 v4, v7, v4
	v_subrev_u32_e32 v9, s24, v4
	v_cmp_le_u32_e32 vcc, s24, v4
	v_cndmask_b32_e32 v4, v4, v9, vcc
	v_cndmask_b32_e32 v3, v3, v6, vcc
	v_add_u32_e32 v6, 1, v3
	v_cmp_le_u32_e32 vcc, s24, v4
	v_cndmask_b32_e32 v3, v3, v6, vcc
	v_mov_b32_e32 v4, v5
.LBB0_6:                                ;   in Loop: Header=BB0_2 Depth=1
	s_or_b64 exec, exec, s[0:1]
	v_mul_lo_u32 v6, v4, s24
	v_mul_lo_u32 v11, v3, s25
	v_mad_u64_u32 v[9:10], s[0:1], v3, s24, 0
	s_load_dwordx2 s[0:1], s[6:7], 0x0
	s_load_dwordx2 s[24:25], s[2:3], 0x0
	v_add3_u32 v6, v10, v11, v6
	v_sub_co_u32_e32 v7, vcc, v7, v9
	v_subb_co_u32_e32 v6, vcc, v8, v6, vcc
	s_waitcnt lgkmcnt(0)
	v_mul_lo_u32 v8, s0, v6
	v_mul_lo_u32 v9, s1, v7
	v_mad_u64_u32 v[75:76], s[0:1], s0, v7, v[75:76]
	v_mul_lo_u32 v6, s24, v6
	v_mul_lo_u32 v10, s25, v7
	v_mad_u64_u32 v[1:2], s[0:1], s24, v7, v[1:2]
	s_add_u32 s22, s22, 1
	s_addc_u32 s23, s23, 0
	s_add_u32 s2, s2, 8
	v_add3_u32 v2, v10, v2, v6
	s_addc_u32 s3, s3, 0
	v_mov_b32_e32 v6, s14
	s_add_u32 s6, s6, 8
	v_mov_b32_e32 v7, s15
	s_addc_u32 s7, s7, 0
	v_cmp_ge_u64_e32 vcc, s[22:23], v[6:7]
	s_add_u32 s20, s20, 8
	v_add3_u32 v76, v9, v76, v8
	s_addc_u32 s21, s21, 0
	s_cbranch_vccnz .LBB0_8
; %bb.7:                                ;   in Loop: Header=BB0_2 Depth=1
	v_mov_b32_e32 v8, v4
	v_mov_b32_e32 v7, v3
	s_branch .LBB0_2
.LBB0_8:
	s_load_dwordx2 s[0:1], s[4:5], 0x28
	s_lshl_b64 s[6:7], s[14:15], 3
	s_add_u32 s2, s18, s6
	s_addc_u32 s3, s19, s7
                                        ; implicit-def: $sgpr14
                                        ; implicit-def: $vgpr77
	s_waitcnt lgkmcnt(0)
	v_cmp_gt_u64_e32 vcc, s[0:1], v[3:4]
	v_cmp_le_u64_e64 s[0:1], s[0:1], v[3:4]
	s_and_saveexec_b64 s[4:5], s[0:1]
	s_xor_b64 s[0:1], exec, s[4:5]
; %bb.9:
	s_mov_b32 s4, 0xf0f0f10
	v_mul_hi_u32 v5, v0, s4
	s_mov_b32 s14, 0
                                        ; implicit-def: $vgpr75_vgpr76
	v_mul_u32_u24_e32 v5, 17, v5
	v_sub_u32_e32 v77, v0, v5
                                        ; implicit-def: $vgpr0
; %bb.10:
	s_or_saveexec_b64 s[4:5], s[0:1]
	s_load_dwordx2 s[2:3], s[2:3], 0x0
	v_mov_b32_e32 v20, s14
	v_mov_b32_e32 v19, s14
                                        ; implicit-def: $vgpr62
                                        ; implicit-def: $vgpr68
                                        ; implicit-def: $vgpr64
                                        ; implicit-def: $vgpr58
                                        ; implicit-def: $vgpr54
                                        ; implicit-def: $vgpr50
                                        ; implicit-def: $vgpr46
                                        ; implicit-def: $vgpr40
                                        ; implicit-def: $vgpr34
                                        ; implicit-def: $vgpr42
                                        ; implicit-def: $vgpr48
                                        ; implicit-def: $vgpr52
                                        ; implicit-def: $vgpr56
                                        ; implicit-def: $vgpr60
                                        ; implicit-def: $vgpr66
                                        ; implicit-def: $vgpr72
                                        ; implicit-def: $vgpr38
                                        ; implicit-def: $vgpr32
                                        ; implicit-def: $vgpr28
                                        ; implicit-def: $vgpr24
                                        ; implicit-def: $vgpr18
                                        ; implicit-def: $vgpr14
                                        ; implicit-def: $vgpr10
                                        ; implicit-def: $vgpr8
                                        ; implicit-def: $vgpr44
                                        ; implicit-def: $vgpr36
                                        ; implicit-def: $vgpr30
                                        ; implicit-def: $vgpr26
                                        ; implicit-def: $vgpr22
                                        ; implicit-def: $vgpr16
                                        ; implicit-def: $vgpr12
                                        ; implicit-def: $vgpr6
                                        ; implicit-def: $vgpr70
	s_xor_b64 exec, exec, s[4:5]
	s_cbranch_execz .LBB0_14
; %bb.11:
	s_add_u32 s0, s16, s6
	s_addc_u32 s1, s17, s7
	s_load_dwordx2 s[0:1], s[0:1], 0x0
	s_mov_b32 s6, 0xf0f0f10
	v_mul_hi_u32 v7, v0, s6
	v_mov_b32_e32 v19, 0
	v_mov_b32_e32 v20, 0
	s_waitcnt lgkmcnt(0)
	v_mul_lo_u32 v8, s1, v3
	v_mul_lo_u32 v9, s0, v4
	v_mad_u64_u32 v[5:6], s[0:1], s0, v3, 0
	v_mul_u32_u24_e32 v7, 17, v7
	v_sub_u32_e32 v77, v0, v7
	v_add3_u32 v6, v6, v9, v8
	v_lshlrev_b64 v[5:6], 3, v[5:6]
	v_mov_b32_e32 v0, s9
	v_add_co_u32_e64 v7, s[0:1], s8, v5
	v_addc_co_u32_e64 v0, s[0:1], v0, v6, s[0:1]
	v_lshlrev_b64 v[5:6], 3, v[75:76]
                                        ; implicit-def: $vgpr11
                                        ; implicit-def: $vgpr15
                                        ; implicit-def: $vgpr21
                                        ; implicit-def: $vgpr25
                                        ; implicit-def: $vgpr29
                                        ; implicit-def: $vgpr35
                                        ; implicit-def: $vgpr43
                                        ; implicit-def: $vgpr9
                                        ; implicit-def: $vgpr13
                                        ; implicit-def: $vgpr17
                                        ; implicit-def: $vgpr23
                                        ; implicit-def: $vgpr27
                                        ; implicit-def: $vgpr31
                                        ; implicit-def: $vgpr37
	v_add_co_u32_e64 v5, s[0:1], v7, v5
	v_addc_co_u32_e64 v0, s[0:1], v0, v6, s[0:1]
	v_lshlrev_b32_e32 v6, 3, v77
	v_add_co_u32_e64 v74, s[0:1], v5, v6
	v_addc_co_u32_e64 v75, s[0:1], 0, v0, s[0:1]
	global_load_dwordx2 v[61:62], v[74:75], off
	global_load_dwordx2 v[67:68], v[74:75], off offset:192
	global_load_dwordx2 v[63:64], v[74:75], off offset:384
	;; [unrolled: 1-line block ×16, first 2 shown]
	v_cmp_gt_u32_e64 s[0:1], 7, v77
                                        ; implicit-def: $vgpr5
                                        ; implicit-def: $vgpr7
	s_and_saveexec_b64 s[6:7], s[0:1]
	s_cbranch_execz .LBB0_13
; %bb.12:
	global_load_dwordx2 v[19:20], v[74:75], off offset:136
	global_load_dwordx2 v[37:38], v[74:75], off offset:328
	;; [unrolled: 1-line block ×17, first 2 shown]
.LBB0_13:
	s_or_b64 exec, exec, s[6:7]
.LBB0_14:
	s_or_b64 exec, exec, s[4:5]
	s_mov_b32 s0, 0xaaaaaaab
	v_mul_hi_u32 v0, v73, s0
	s_waitcnt vmcnt(15)
	v_add_f32_e32 v74, v61, v67
	s_waitcnt vmcnt(14)
	v_add_f32_e32 v74, v74, v63
	;; [unrolled: 2-line block ×3, first 2 shown]
	v_lshrrev_b32_e32 v0, 1, v0
	v_lshl_add_u32 v0, v0, 1, v0
	v_sub_u32_e32 v0, v73, v0
	s_waitcnt vmcnt(12)
	v_add_f32_e32 v73, v74, v53
	s_waitcnt vmcnt(11)
	v_add_f32_e32 v73, v73, v49
	;; [unrolled: 2-line block ×11, first 2 shown]
	s_waitcnt vmcnt(0)
	v_sub_f32_e32 v75, v68, v72
	v_add_f32_e32 v73, v73, v69
	v_mul_f32_e32 v76, 0xbeb8f4ab, v75
	v_mul_f32_e32 v79, 0xbf2c7751, v75
	;; [unrolled: 1-line block ×8, first 2 shown]
	v_add_f32_e32 v74, v73, v71
	v_add_f32_e32 v73, v67, v71
	s_mov_b32 s14, 0x3f6eb680
	v_mov_b32_e32 v78, v76
	s_mov_b32 s8, 0x3f3d2fb0
	v_mov_b32_e32 v80, v79
	;; [unrolled: 2-line block ×8, first 2 shown]
	v_fmac_f32_e32 v78, 0x3f6eb680, v73
	v_fma_f32 v76, v73, s14, -v76
	v_fmac_f32_e32 v80, 0x3f3d2fb0, v73
	v_fma_f32 v79, v73, s8, -v79
	;; [unrolled: 2-line block ×8, first 2 shown]
	v_sub_f32_e32 v75, v64, v70
	v_add_f32_e32 v78, v78, v61
	v_add_f32_e32 v76, v76, v61
	;; [unrolled: 1-line block ×17, first 2 shown]
	v_mul_f32_e32 v92, 0xbf2c7751, v75
	v_mov_b32_e32 v93, v92
	v_fma_f32 v92, v73, s8, -v92
	v_fmac_f32_e32 v93, 0x3f3d2fb0, v73
	v_add_f32_e32 v76, v76, v92
	v_mul_f32_e32 v92, 0xbf7ee86f, v75
	v_add_f32_e32 v78, v78, v93
	v_mov_b32_e32 v93, v92
	v_fma_f32 v92, v73, s6, -v92
	v_fmac_f32_e32 v93, 0x3dbcf732, v73
	v_add_f32_e32 v79, v79, v92
	v_mul_f32_e32 v92, 0xbf4c4adb, v75
	v_add_f32_e32 v80, v80, v93
	v_mov_b32_e32 v93, v92
	v_fma_f32 v92, v73, s15, -v92
	v_fmac_f32_e32 v93, 0xbf1a4643, v73
	v_add_f32_e32 v81, v81, v92
	v_mul_f32_e32 v92, 0xbe3c28d5, v75
	v_add_f32_e32 v82, v82, v93
	v_mov_b32_e32 v93, v92
	v_fma_f32 v92, v73, s17, -v92
	v_fmac_f32_e32 v93, 0xbf7ba420, v73
	v_add_f32_e32 v83, v83, v92
	v_mul_f32_e32 v92, 0x3f06c442, v75
	v_add_f32_e32 v84, v84, v93
	v_mov_b32_e32 v93, v92
	v_fma_f32 v92, v73, s16, -v92
	v_fmac_f32_e32 v93, 0xbf59a7d5, v73
	v_add_f32_e32 v85, v85, v92
	v_mul_f32_e32 v92, 0x3f763a35, v75
	v_add_f32_e32 v86, v86, v93
	v_mov_b32_e32 v93, v92
	v_fma_f32 v92, v73, s9, -v92
	v_fmac_f32_e32 v93, 0xbe8c1d8e, v73
	v_add_f32_e32 v87, v87, v92
	v_mul_f32_e32 v92, 0x3f65296c, v75
	v_add_f32_e32 v88, v88, v93
	v_mov_b32_e32 v93, v92
	v_fma_f32 v92, v73, s7, -v92
	v_mul_f32_e32 v75, 0x3eb8f4ab, v75
	v_add_f32_e32 v89, v89, v92
	v_mov_b32_e32 v92, v75
	v_fmac_f32_e32 v93, 0x3ee437d1, v73
	v_fmac_f32_e32 v92, 0x3f6eb680, v73
	v_fma_f32 v73, v73, s14, -v75
	v_sub_f32_e32 v75, v58, v66
	v_add_f32_e32 v91, v91, v92
	v_add_f32_e32 v61, v61, v73
	v_add_f32_e32 v73, v57, v65
	v_mul_f32_e32 v92, 0xbf65296c, v75
	v_add_f32_e32 v90, v90, v93
	v_mov_b32_e32 v93, v92
	v_fma_f32 v92, v73, s7, -v92
	v_fmac_f32_e32 v93, 0x3ee437d1, v73
	v_add_f32_e32 v76, v92, v76
	v_mul_f32_e32 v92, 0xbf4c4adb, v75
	v_add_f32_e32 v78, v93, v78
	v_mov_b32_e32 v93, v92
	v_fma_f32 v92, v73, s15, -v92
	v_fmac_f32_e32 v93, 0xbf1a4643, v73
	v_add_f32_e32 v79, v92, v79
	v_mul_f32_e32 v92, 0x3e3c28d5, v75
	v_add_f32_e32 v80, v93, v80
	v_mov_b32_e32 v93, v92
	v_fma_f32 v92, v73, s17, -v92
	v_fmac_f32_e32 v93, 0xbf7ba420, v73
	v_add_f32_e32 v81, v92, v81
	v_mul_f32_e32 v92, 0x3f763a35, v75
	v_add_f32_e32 v82, v93, v82
	v_mov_b32_e32 v93, v92
	v_fma_f32 v92, v73, s9, -v92
	v_fmac_f32_e32 v93, 0xbe8c1d8e, v73
	v_add_f32_e32 v83, v92, v83
	v_mul_f32_e32 v92, 0x3f2c7751, v75
	v_add_f32_e32 v84, v93, v84
	v_mov_b32_e32 v93, v92
	v_fma_f32 v92, v73, s8, -v92
	v_fmac_f32_e32 v93, 0x3f3d2fb0, v73
	v_add_f32_e32 v85, v92, v85
	v_mul_f32_e32 v92, 0xbeb8f4ab, v75
	v_add_f32_e32 v86, v93, v86
	v_mov_b32_e32 v93, v92
	v_fma_f32 v92, v73, s14, -v92
	v_fmac_f32_e32 v93, 0x3f6eb680, v73
	v_add_f32_e32 v87, v92, v87
	v_mul_f32_e32 v92, 0xbf7ee86f, v75
	v_add_f32_e32 v88, v93, v88
	v_mov_b32_e32 v93, v92
	v_fma_f32 v92, v73, s6, -v92
	v_mul_f32_e32 v75, 0xbf06c442, v75
	v_add_f32_e32 v89, v92, v89
	v_mov_b32_e32 v92, v75
	v_fmac_f32_e32 v93, 0x3dbcf732, v73
	v_fmac_f32_e32 v92, 0xbf59a7d5, v73
	v_fma_f32 v73, v73, s16, -v75
	v_sub_f32_e32 v75, v54, v60
	v_add_f32_e32 v91, v92, v91
	v_add_f32_e32 v61, v73, v61
	v_add_f32_e32 v73, v53, v59
	v_mul_f32_e32 v92, 0xbf7ee86f, v75
	v_add_f32_e32 v90, v93, v90
	;; [unrolled: 50-line block ×6, first 2 shown]
	v_mov_b32_e32 v93, v92
	v_fma_f32 v92, v73, s17, -v92
	v_fmac_f32_e32 v93, 0xbf7ba420, v73
	v_add_f32_e32 v76, v92, v76
	v_mul_f32_e32 v92, 0x3eb8f4ab, v75
	v_add_f32_e32 v78, v93, v78
	v_mov_b32_e32 v93, v92
	v_fma_f32 v92, v73, s14, -v92
	v_fmac_f32_e32 v93, 0x3f6eb680, v73
	v_add_f32_e32 v79, v92, v79
	v_mul_f32_e32 v92, 0xbf06c442, v75
	v_add_f32_e32 v80, v93, v80
	v_mov_b32_e32 v93, v92
	v_fma_f32 v92, v73, s16, -v92
	v_fmac_f32_e32 v93, 0xbf59a7d5, v73
	v_add_f32_e32 v81, v92, v81
	v_mul_f32_e32 v92, 0x3f2c7751, v75
	v_add_f32_e32 v82, v93, v82
	v_mov_b32_e32 v93, v92
	v_fma_f32 v92, v73, s8, -v92
	v_fmac_f32_e32 v93, 0x3f3d2fb0, v73
	v_add_f32_e32 v83, v92, v83
	v_mul_f32_e32 v92, 0xbf4c4adb, v75
	v_add_f32_e32 v84, v93, v84
	v_mov_b32_e32 v93, v92
	v_fma_f32 v92, v73, s15, -v92
	v_fmac_f32_e32 v93, 0xbf1a4643, v73
	v_add_f32_e32 v85, v92, v85
	v_mul_f32_e32 v92, 0x3f65296c, v75
	v_add_f32_e32 v86, v93, v86
	v_mov_b32_e32 v93, v92
	v_fma_f32 v92, v73, s7, -v92
	v_fmac_f32_e32 v93, 0x3ee437d1, v73
	v_add_f32_e32 v87, v92, v87
	v_mul_f32_e32 v92, 0xbf763a35, v75
	v_add_f32_e32 v88, v93, v88
	v_mov_b32_e32 v93, v92
	v_fma_f32 v92, v73, s9, -v92
	v_mul_f32_e32 v75, 0x3f7ee86f, v75
	v_add_f32_e32 v89, v92, v89
	v_mov_b32_e32 v92, v75
	v_mul_u32_u24_e32 v0, 0x198, v0
	v_fmac_f32_e32 v93, 0xbe8c1d8e, v73
	v_fmac_f32_e32 v92, 0x3dbcf732, v73
	v_fma_f32 v73, v73, s6, -v75
	v_add_f32_e32 v61, v73, v61
	v_mul_u32_u24_e32 v73, 0x44, v77
	v_lshlrev_b32_e32 v0, 2, v0
	v_add3_u32 v73, 0, v73, v0
	v_add_f32_e32 v90, v93, v90
	v_add_f32_e32 v91, v92, v91
	ds_write2_b32 v73, v74, v78 offset1:1
	ds_write2_b32 v73, v80, v82 offset0:2 offset1:3
	ds_write2_b32 v73, v84, v86 offset0:4 offset1:5
	;; [unrolled: 1-line block ×7, first 2 shown]
	ds_write_b32 v73, v76 offset:64
	v_add_u32_e32 v61, 17, v77
	v_cmp_gt_u32_e64 s[0:1], 7, v77
	s_and_saveexec_b64 s[4:5], s[0:1]
	s_cbranch_execz .LBB0_16
; %bb.15:
	v_add_f32_e32 v74, v37, v43
	v_mul_f32_e32 v75, 0xbf7ba420, v74
	v_add_f32_e32 v79, v31, v35
	v_sub_f32_e32 v76, v38, v44
	v_mov_b32_e32 v78, v75
	v_mul_f32_e32 v80, 0x3f6eb680, v79
	v_fmac_f32_e32 v78, 0x3e3c28d5, v76
	v_sub_f32_e32 v81, v32, v36
	v_mov_b32_e32 v82, v80
	v_add_f32_e32 v78, v19, v78
	v_fmac_f32_e32 v82, 0xbeb8f4ab, v81
	v_add_f32_e32 v78, v78, v82
	v_add_f32_e32 v82, v27, v29
	v_mul_f32_e32 v83, 0xbf59a7d5, v82
	v_sub_f32_e32 v84, v28, v30
	v_mov_b32_e32 v85, v83
	v_fmac_f32_e32 v85, 0x3f06c442, v84
	v_add_f32_e32 v78, v78, v85
	v_add_f32_e32 v85, v23, v25
	v_mul_f32_e32 v86, 0x3f3d2fb0, v85
	v_sub_f32_e32 v87, v24, v26
	v_mov_b32_e32 v88, v86
	v_fmac_f32_e32 v88, 0xbf2c7751, v87
	v_add_f32_e32 v78, v78, v88
	v_add_f32_e32 v88, v17, v21
	v_mul_f32_e32 v89, 0xbf1a4643, v88
	v_fmac_f32_e32 v75, 0xbe3c28d5, v76
	v_sub_f32_e32 v90, v18, v22
	v_mov_b32_e32 v91, v89
	v_add_f32_e32 v75, v19, v75
	v_fmac_f32_e32 v80, 0x3eb8f4ab, v81
	v_fmac_f32_e32 v91, 0x3f4c4adb, v90
	v_add_f32_e32 v75, v75, v80
	v_fmac_f32_e32 v83, 0xbf06c442, v84
	v_add_f32_e32 v78, v78, v91
	v_add_f32_e32 v91, v13, v15
	;; [unrolled: 1-line block ×3, first 2 shown]
	v_fmac_f32_e32 v86, 0x3f2c7751, v87
	v_mul_f32_e32 v80, 0xbf59a7d5, v74
	v_mul_f32_e32 v92, 0x3ee437d1, v91
	v_add_f32_e32 v75, v75, v86
	v_fmac_f32_e32 v89, 0xbf4c4adb, v90
	v_mov_b32_e32 v83, v80
	v_mul_f32_e32 v86, 0x3ee437d1, v79
	v_sub_f32_e32 v93, v14, v16
	v_mov_b32_e32 v94, v92
	v_add_f32_e32 v75, v75, v89
	v_fmac_f32_e32 v83, 0x3f06c442, v76
	v_mov_b32_e32 v89, v86
	v_fmac_f32_e32 v94, 0xbf65296c, v93
	v_add_f32_e32 v83, v19, v83
	v_fmac_f32_e32 v89, 0xbf65296c, v81
	v_add_f32_e32 v78, v78, v94
	v_add_f32_e32 v94, v9, v11
	v_fmac_f32_e32 v92, 0x3f65296c, v93
	v_add_f32_e32 v83, v83, v89
	v_mul_f32_e32 v89, 0x3dbcf732, v82
	v_mul_f32_e32 v95, 0xbe8c1d8e, v94
	v_add_f32_e32 v75, v75, v92
	v_mov_b32_e32 v92, v89
	v_sub_f32_e32 v96, v10, v12
	v_mov_b32_e32 v97, v95
	v_fmac_f32_e32 v92, 0x3f7ee86f, v84
	v_fmac_f32_e32 v97, 0x3f763a35, v96
	;; [unrolled: 1-line block ×3, first 2 shown]
	v_add_f32_e32 v83, v83, v92
	v_mul_f32_e32 v92, 0xbf1a4643, v85
	v_fmac_f32_e32 v80, 0xbf06c442, v76
	v_add_f32_e32 v78, v78, v97
	v_add_f32_e32 v97, v7, v5
	;; [unrolled: 1-line block ×3, first 2 shown]
	v_mov_b32_e32 v95, v92
	v_add_f32_e32 v80, v19, v80
	v_fmac_f32_e32 v86, 0x3f65296c, v81
	v_mul_f32_e32 v98, 0x3dbcf732, v97
	v_sub_f32_e32 v99, v8, v6
	v_fmac_f32_e32 v95, 0xbf4c4adb, v87
	v_add_f32_e32 v80, v80, v86
	v_fmac_f32_e32 v89, 0xbf7ee86f, v84
	v_mov_b32_e32 v100, v98
	v_fmac_f32_e32 v98, 0x3f7ee86f, v99
	v_add_f32_e32 v83, v83, v95
	v_mul_f32_e32 v95, 0x3f6eb680, v88
	v_add_f32_e32 v80, v80, v89
	v_fmac_f32_e32 v92, 0x3f4c4adb, v87
	v_mul_f32_e32 v86, 0xbf1a4643, v74
	v_add_f32_e32 v75, v75, v98
	v_mov_b32_e32 v98, v95
	v_add_f32_e32 v80, v80, v92
	v_fmac_f32_e32 v95, 0xbeb8f4ab, v90
	v_mov_b32_e32 v89, v86
	v_mul_f32_e32 v92, 0xbe8c1d8e, v79
	v_fmac_f32_e32 v98, 0x3eb8f4ab, v90
	v_add_f32_e32 v80, v80, v95
	v_fmac_f32_e32 v89, 0x3f4c4adb, v76
	v_mov_b32_e32 v95, v92
	v_fmac_f32_e32 v100, 0xbf7ee86f, v99
	v_add_f32_e32 v83, v83, v98
	v_mul_f32_e32 v98, 0xbf7ba420, v91
	v_add_f32_e32 v89, v19, v89
	v_fmac_f32_e32 v95, 0xbf763a35, v81
	v_add_f32_e32 v78, v78, v100
	v_mov_b32_e32 v100, v98
	v_fmac_f32_e32 v98, 0xbe3c28d5, v93
	v_add_f32_e32 v89, v89, v95
	v_mul_f32_e32 v95, 0x3f6eb680, v82
	v_fmac_f32_e32 v100, 0x3e3c28d5, v93
	v_add_f32_e32 v80, v80, v98
	v_mov_b32_e32 v98, v95
	v_add_f32_e32 v83, v83, v100
	v_mul_f32_e32 v100, 0x3f3d2fb0, v94
	v_fmac_f32_e32 v98, 0x3eb8f4ab, v84
	v_mov_b32_e32 v101, v100
	v_fmac_f32_e32 v100, 0x3f2c7751, v96
	v_add_f32_e32 v89, v89, v98
	v_mul_f32_e32 v98, 0xbf59a7d5, v85
	v_fmac_f32_e32 v86, 0xbf4c4adb, v76
	v_fmac_f32_e32 v101, 0xbf2c7751, v96
	v_add_f32_e32 v80, v80, v100
	v_mov_b32_e32 v100, v98
	v_add_f32_e32 v86, v19, v86
	v_fmac_f32_e32 v92, 0x3f763a35, v81
	v_add_f32_e32 v83, v83, v101
	v_mul_f32_e32 v101, 0xbe8c1d8e, v97
	v_fmac_f32_e32 v100, 0x3f06c442, v87
	v_add_f32_e32 v86, v86, v92
	v_fmac_f32_e32 v95, 0xbeb8f4ab, v84
	v_mov_b32_e32 v102, v101
	v_fmac_f32_e32 v101, 0xbf763a35, v99
	v_add_f32_e32 v89, v89, v100
	v_mul_f32_e32 v100, 0x3dbcf732, v88
	v_add_f32_e32 v86, v86, v95
	v_fmac_f32_e32 v98, 0xbf06c442, v87
	v_mul_f32_e32 v92, 0xbe8c1d8e, v74
	v_add_f32_e32 v80, v80, v101
	v_mov_b32_e32 v101, v100
	v_add_f32_e32 v86, v86, v98
	v_fmac_f32_e32 v100, 0x3f7ee86f, v90
	v_mov_b32_e32 v95, v92
	v_mul_f32_e32 v98, 0xbf59a7d5, v79
	v_fmac_f32_e32 v101, 0xbf7ee86f, v90
	v_add_f32_e32 v86, v86, v100
	v_fmac_f32_e32 v95, 0x3f763a35, v76
	v_mov_b32_e32 v100, v98
	v_fmac_f32_e32 v102, 0x3f763a35, v99
	v_add_f32_e32 v89, v89, v101
	v_mul_f32_e32 v101, 0x3f3d2fb0, v91
	v_add_f32_e32 v95, v19, v95
	v_fmac_f32_e32 v100, 0xbf06c442, v81
	v_add_f32_e32 v83, v83, v102
	v_mov_b32_e32 v102, v101
	v_fmac_f32_e32 v101, 0xbf2c7751, v93
	v_add_f32_e32 v95, v95, v100
	v_mul_f32_e32 v100, 0x3f3d2fb0, v82
	v_fmac_f32_e32 v102, 0x3f2c7751, v93
	v_add_f32_e32 v86, v86, v101
	v_mov_b32_e32 v101, v100
	v_add_f32_e32 v89, v89, v102
	v_mul_f32_e32 v102, 0xbf7ba420, v94
	v_fmac_f32_e32 v101, 0xbf2c7751, v84
	v_mov_b32_e32 v103, v102
	v_fmac_f32_e32 v102, 0xbe3c28d5, v96
	v_add_f32_e32 v95, v95, v101
	v_mul_f32_e32 v101, 0x3ee437d1, v85
	v_fmac_f32_e32 v92, 0xbf763a35, v76
	v_fmac_f32_e32 v103, 0x3e3c28d5, v96
	v_add_f32_e32 v86, v86, v102
	v_mov_b32_e32 v102, v101
	v_add_f32_e32 v92, v19, v92
	v_fmac_f32_e32 v98, 0x3f06c442, v81
	v_add_f32_e32 v89, v89, v103
	v_mul_f32_e32 v103, 0x3ee437d1, v97
	;; [unrolled: 48-line block ×4, first 2 shown]
	v_fmac_f32_e32 v106, 0xbf763a35, v87
	v_add_f32_e32 v101, v101, v103
	v_fmac_f32_e32 v104, 0x3e3c28d5, v84
	v_mov_b32_e32 v108, v107
	v_fmac_f32_e32 v107, 0x3f2c7751, v99
	v_add_f32_e32 v102, v102, v106
	v_mul_f32_e32 v106, 0x3f3d2fb0, v88
	v_add_f32_e32 v101, v101, v104
	v_fmac_f32_e32 v105, 0x3f763a35, v87
	v_mul_f32_e32 v103, 0x3f3d2fb0, v74
	v_add_f32_e32 v98, v98, v107
	v_mov_b32_e32 v107, v106
	v_add_f32_e32 v101, v101, v105
	v_fmac_f32_e32 v106, 0x3f2c7751, v90
	v_mov_b32_e32 v104, v103
	v_mul_f32_e32 v105, 0x3dbcf732, v79
	v_fmac_f32_e32 v107, 0xbf2c7751, v90
	v_add_f32_e32 v101, v101, v106
	v_fmac_f32_e32 v104, 0x3f2c7751, v76
	v_mov_b32_e32 v106, v105
	v_fmac_f32_e32 v103, 0xbf2c7751, v76
	v_fmac_f32_e32 v108, 0xbf2c7751, v99
	v_add_f32_e32 v102, v102, v107
	v_mul_f32_e32 v107, 0x3f6eb680, v91
	v_add_f32_e32 v104, v19, v104
	v_fmac_f32_e32 v106, 0x3f7ee86f, v81
	v_add_f32_e32 v103, v19, v103
	v_fmac_f32_e32 v105, 0xbf7ee86f, v81
	v_mul_f32_e32 v74, 0x3f6eb680, v74
	v_add_f32_e32 v100, v100, v108
	v_mov_b32_e32 v108, v107
	v_fmac_f32_e32 v107, 0xbeb8f4ab, v93
	v_add_f32_e32 v104, v104, v106
	v_mul_f32_e32 v106, 0xbf1a4643, v82
	v_add_f32_e32 v103, v103, v105
	v_mov_b32_e32 v105, v74
	v_fmac_f32_e32 v108, 0x3eb8f4ab, v93
	v_add_f32_e32 v101, v101, v107
	v_mov_b32_e32 v107, v106
	v_fmac_f32_e32 v105, 0x3eb8f4ab, v76
	v_fmac_f32_e32 v74, 0xbeb8f4ab, v76
	v_add_f32_e32 v102, v102, v108
	v_mul_f32_e32 v108, 0x3dbcf732, v94
	v_fmac_f32_e32 v107, 0x3f4c4adb, v84
	v_add_f32_e32 v105, v19, v105
	v_add_f32_e32 v74, v19, v74
	;; [unrolled: 1-line block ×3, first 2 shown]
	v_mov_b32_e32 v109, v108
	v_fmac_f32_e32 v108, 0xbf7ee86f, v96
	v_add_f32_e32 v104, v104, v107
	v_mul_f32_e32 v107, 0xbf7ba420, v85
	v_fmac_f32_e32 v106, 0xbf4c4adb, v84
	v_mul_f32_e32 v79, 0x3f3d2fb0, v79
	v_add_f32_e32 v19, v19, v31
	v_fmac_f32_e32 v109, 0x3f7ee86f, v96
	v_add_f32_e32 v101, v101, v108
	v_mov_b32_e32 v108, v107
	v_add_f32_e32 v103, v103, v106
	v_mov_b32_e32 v106, v79
	v_add_f32_e32 v19, v19, v27
	v_add_f32_e32 v102, v102, v109
	v_mul_f32_e32 v109, 0xbf59a7d5, v97
	v_fmac_f32_e32 v108, 0x3e3c28d5, v87
	v_fmac_f32_e32 v106, 0x3f2c7751, v81
	v_mul_f32_e32 v82, 0x3ee437d1, v82
	v_add_f32_e32 v19, v19, v23
	v_mov_b32_e32 v110, v109
	v_fmac_f32_e32 v109, 0xbf06c442, v99
	v_add_f32_e32 v104, v104, v108
	v_mul_f32_e32 v108, 0xbf59a7d5, v88
	v_add_f32_e32 v105, v105, v106
	v_mov_b32_e32 v106, v82
	v_add_f32_e32 v19, v19, v17
	v_add_f32_e32 v101, v101, v109
	v_mov_b32_e32 v109, v108
	v_fmac_f32_e32 v106, 0x3f65296c, v84
	v_mul_f32_e32 v85, 0x3dbcf732, v85
	v_add_f32_e32 v19, v19, v13
	v_fmac_f32_e32 v109, 0xbf06c442, v90
	v_add_f32_e32 v105, v105, v106
	v_mov_b32_e32 v106, v85
	v_add_f32_e32 v19, v19, v9
	v_fmac_f32_e32 v110, 0x3f06c442, v99
	v_add_f32_e32 v104, v104, v109
	v_mul_f32_e32 v109, 0xbe8c1d8e, v91
	v_fmac_f32_e32 v106, 0x3f7ee86f, v87
	v_mul_f32_e32 v88, 0xbe8c1d8e, v88
	v_add_f32_e32 v19, v19, v7
	v_add_f32_e32 v102, v102, v110
	v_mov_b32_e32 v110, v109
	v_add_f32_e32 v105, v105, v106
	v_mov_b32_e32 v106, v88
	v_fmac_f32_e32 v79, 0xbf2c7751, v81
	v_add_f32_e32 v19, v19, v5
	v_fmac_f32_e32 v110, 0xbf763a35, v93
	v_fmac_f32_e32 v106, 0x3f763a35, v90
	v_mul_f32_e32 v91, 0xbf1a4643, v91
	v_add_f32_e32 v74, v74, v79
	v_fmac_f32_e32 v82, 0xbf65296c, v84
	v_add_f32_e32 v19, v11, v19
	v_add_f32_e32 v104, v104, v110
	v_mul_f32_e32 v110, 0x3ee437d1, v94
	v_add_f32_e32 v105, v105, v106
	v_mov_b32_e32 v106, v91
	v_add_f32_e32 v74, v74, v82
	v_fmac_f32_e32 v85, 0xbf7ee86f, v87
	v_add_f32_e32 v19, v15, v19
	v_mov_b32_e32 v111, v110
	v_fmac_f32_e32 v107, 0xbe3c28d5, v87
	v_fmac_f32_e32 v106, 0x3f4c4adb, v93
	v_mul_f32_e32 v94, 0xbf59a7d5, v94
	v_add_f32_e32 v74, v74, v85
	v_fmac_f32_e32 v88, 0xbf763a35, v90
	v_add_f32_e32 v19, v21, v19
	v_fmac_f32_e32 v111, 0xbf65296c, v96
	;; [unrolled: 2-line block ×3, first 2 shown]
	v_add_f32_e32 v105, v105, v106
	v_mov_b32_e32 v106, v94
	v_add_f32_e32 v74, v74, v88
	v_fmac_f32_e32 v91, 0xbf4c4adb, v93
	v_add_f32_e32 v19, v25, v19
	v_add_f32_e32 v104, v104, v111
	v_mul_f32_e32 v111, 0x3f6eb680, v97
	v_add_f32_e32 v103, v103, v108
	v_fmac_f32_e32 v109, 0x3f763a35, v93
	v_fmac_f32_e32 v106, 0x3f06c442, v96
	v_mul_f32_e32 v97, 0xbf7ba420, v97
	v_add_f32_e32 v74, v74, v91
	v_fmac_f32_e32 v94, 0xbf06c442, v96
	v_add_f32_e32 v19, v29, v19
	v_mov_b32_e32 v112, v111
	v_add_f32_e32 v103, v103, v109
	v_fmac_f32_e32 v110, 0x3f65296c, v96
	v_add_f32_e32 v105, v105, v106
	v_mov_b32_e32 v106, v97
	v_add_f32_e32 v74, v74, v94
	v_fmac_f32_e32 v97, 0xbe3c28d5, v99
	v_add_f32_e32 v19, v35, v19
	v_mul_u32_u24_e32 v76, 0x44, v61
	v_fmac_f32_e32 v112, 0xbeb8f4ab, v99
	v_add_f32_e32 v103, v103, v110
	v_fmac_f32_e32 v111, 0x3eb8f4ab, v99
	v_fmac_f32_e32 v106, 0x3e3c28d5, v99
	v_add_f32_e32 v74, v74, v97
	v_add_f32_e32 v19, v43, v19
	v_add3_u32 v76, 0, v76, v0
	v_add_f32_e32 v104, v104, v112
	v_add_f32_e32 v103, v103, v111
	;; [unrolled: 1-line block ×3, first 2 shown]
	ds_write2_b32 v76, v19, v74 offset1:1
	ds_write2_b32 v76, v103, v101 offset0:2 offset1:3
	ds_write2_b32 v76, v98, v92 offset0:4 offset1:5
	;; [unrolled: 1-line block ×7, first 2 shown]
	ds_write_b32 v76, v105 offset:64
.LBB0_16:
	s_or_b64 exec, exec, s[4:5]
	v_add_f32_e32 v19, v62, v68
	v_add_f32_e32 v19, v19, v64
	;; [unrolled: 1-line block ×15, first 2 shown]
	v_sub_f32_e32 v67, v67, v71
	v_add_f32_e32 v74, v19, v72
	v_add_f32_e32 v19, v68, v72
	v_mul_f32_e32 v68, 0xbeb8f4ab, v67
	v_mul_f32_e32 v72, 0xbf2c7751, v67
	;; [unrolled: 1-line block ×8, first 2 shown]
	v_fma_f32 v71, v19, s14, -v68
	v_fmac_f32_e32 v68, 0x3f6eb680, v19
	v_fma_f32 v75, v19, s8, -v72
	v_fmac_f32_e32 v72, 0x3f3d2fb0, v19
	;; [unrolled: 2-line block ×8, first 2 shown]
	v_sub_f32_e32 v63, v63, v69
	v_add_f32_e32 v71, v71, v62
	v_add_f32_e32 v68, v68, v62
	;; [unrolled: 1-line block ×17, first 2 shown]
	v_mul_f32_e32 v64, 0xbf2c7751, v63
	v_fma_f32 v67, v62, s8, -v64
	v_fmac_f32_e32 v64, 0x3f3d2fb0, v62
	v_add_f32_e32 v64, v68, v64
	v_mul_f32_e32 v68, 0xbf7ee86f, v63
	v_fma_f32 v69, v62, s6, -v68
	v_fmac_f32_e32 v68, 0x3dbcf732, v62
	v_mul_f32_e32 v70, 0xbf4c4adb, v63
	v_add_f32_e32 v67, v71, v67
	v_add_f32_e32 v68, v72, v68
	v_fma_f32 v71, v62, s15, -v70
	v_fmac_f32_e32 v70, 0xbf1a4643, v62
	v_mul_f32_e32 v72, 0xbe3c28d5, v63
	v_add_f32_e32 v69, v75, v69
	v_add_f32_e32 v70, v76, v70
	;; [unrolled: 5-line block ×4, first 2 shown]
	v_fma_f32 v80, v62, s9, -v79
	v_fmac_f32_e32 v79, 0xbe8c1d8e, v62
	v_mul_f32_e32 v81, 0x3f65296c, v63
	v_mul_f32_e32 v63, 0x3eb8f4ab, v63
	v_sub_f32_e32 v57, v57, v65
	v_add_f32_e32 v78, v82, v78
	v_add_f32_e32 v79, v83, v79
	v_fma_f32 v82, v62, s7, -v81
	v_fmac_f32_e32 v81, 0x3ee437d1, v62
	v_fma_f32 v83, v62, s14, -v63
	v_fmac_f32_e32 v63, 0x3f6eb680, v62
	v_add_f32_e32 v58, v58, v66
	v_mul_f32_e32 v62, 0xbf65296c, v57
	v_add_f32_e32 v19, v19, v63
	v_fma_f32 v63, v58, s7, -v62
	v_fmac_f32_e32 v62, 0x3ee437d1, v58
	v_add_f32_e32 v62, v62, v64
	v_mul_f32_e32 v64, 0xbf4c4adb, v57
	v_fma_f32 v65, v58, s15, -v64
	v_fmac_f32_e32 v64, 0xbf1a4643, v58
	v_mul_f32_e32 v66, 0x3e3c28d5, v57
	v_add_f32_e32 v63, v63, v67
	v_add_f32_e32 v64, v64, v68
	v_fma_f32 v67, v58, s17, -v66
	v_fmac_f32_e32 v66, 0xbf7ba420, v58
	v_mul_f32_e32 v68, 0x3f763a35, v57
	v_add_f32_e32 v65, v65, v69
	v_add_f32_e32 v66, v66, v70
	v_fma_f32 v69, v58, s9, -v68
	v_fmac_f32_e32 v68, 0xbe8c1d8e, v58
	v_mul_f32_e32 v70, 0x3f2c7751, v57
	v_add_f32_e32 v67, v67, v71
	v_add_f32_e32 v68, v68, v72
	v_fma_f32 v71, v58, s8, -v70
	v_fmac_f32_e32 v70, 0x3f3d2fb0, v58
	v_mul_f32_e32 v72, 0xbeb8f4ab, v57
	v_add_f32_e32 v69, v69, v75
	v_add_f32_e32 v70, v70, v76
	v_fma_f32 v75, v58, s14, -v72
	v_fmac_f32_e32 v72, 0x3f6eb680, v58
	v_mul_f32_e32 v76, 0xbf7ee86f, v57
	v_mul_f32_e32 v57, 0xbf06c442, v57
	v_add_f32_e32 v72, v72, v79
	v_fma_f32 v79, v58, s16, -v57
	v_fmac_f32_e32 v57, 0xbf59a7d5, v58
	v_sub_f32_e32 v53, v53, v59
	v_add_f32_e32 v19, v57, v19
	v_add_f32_e32 v54, v54, v60
	v_mul_f32_e32 v57, 0xbf7ee86f, v53
	v_add_f32_e32 v71, v71, v78
	v_fma_f32 v78, v58, s6, -v76
	v_fmac_f32_e32 v76, 0x3dbcf732, v58
	v_fma_f32 v58, v54, s6, -v57
	v_fmac_f32_e32 v57, 0x3dbcf732, v54
	v_mul_f32_e32 v59, 0xbe3c28d5, v53
	v_add_f32_e32 v57, v57, v62
	v_fma_f32 v60, v54, s17, -v59
	v_fmac_f32_e32 v59, 0xbf7ba420, v54
	v_mul_f32_e32 v62, 0x3f763a35, v53
	v_add_f32_e32 v58, v58, v63
	v_add_f32_e32 v59, v59, v64
	v_fma_f32 v63, v54, s9, -v62
	v_fmac_f32_e32 v62, 0xbe8c1d8e, v54
	v_mul_f32_e32 v64, 0x3eb8f4ab, v53
	v_add_f32_e32 v60, v60, v65
	v_add_f32_e32 v62, v62, v66
	v_fma_f32 v65, v54, s14, -v64
	v_fmac_f32_e32 v64, 0x3f6eb680, v54
	v_mul_f32_e32 v66, 0xbf65296c, v53
	v_add_f32_e32 v63, v63, v67
	v_add_f32_e32 v64, v64, v68
	v_fma_f32 v67, v54, s7, -v66
	v_fmac_f32_e32 v66, 0x3ee437d1, v54
	v_mul_f32_e32 v68, 0xbf06c442, v53
	v_add_f32_e32 v65, v65, v69
	v_add_f32_e32 v66, v66, v70
	v_fma_f32 v69, v54, s16, -v68
	v_fmac_f32_e32 v68, 0xbf59a7d5, v54
	v_mul_f32_e32 v70, 0x3f4c4adb, v53
	v_mul_f32_e32 v53, 0x3f2c7751, v53
	v_add_f32_e32 v68, v68, v72
	v_fma_f32 v72, v54, s8, -v53
	v_fmac_f32_e32 v53, 0x3f3d2fb0, v54
	v_sub_f32_e32 v49, v49, v55
	v_add_f32_e32 v19, v53, v19
	v_add_f32_e32 v50, v50, v56
	v_mul_f32_e32 v53, 0xbf763a35, v49
	v_add_f32_e32 v67, v67, v71
	v_fma_f32 v71, v54, s15, -v70
	v_fmac_f32_e32 v70, 0xbf1a4643, v54
	v_fma_f32 v54, v50, s9, -v53
	v_fmac_f32_e32 v53, 0xbe8c1d8e, v50
	v_mul_f32_e32 v55, 0x3f06c442, v49
	v_add_f32_e32 v53, v53, v57
	v_fma_f32 v56, v50, s16, -v55
	v_fmac_f32_e32 v55, 0xbf59a7d5, v50
	v_mul_f32_e32 v57, 0x3f2c7751, v49
	v_add_f32_e32 v54, v54, v58
	v_add_f32_e32 v55, v55, v59
	v_fma_f32 v58, v50, s8, -v57
	v_fmac_f32_e32 v57, 0x3f3d2fb0, v50
	v_mul_f32_e32 v59, 0xbf65296c, v49
	v_add_f32_e32 v56, v56, v60
	v_add_f32_e32 v57, v57, v62
	v_fma_f32 v60, v50, s7, -v59
	v_fmac_f32_e32 v59, 0x3ee437d1, v50
	v_mul_f32_e32 v62, 0xbe3c28d5, v49
	v_add_f32_e32 v58, v58, v63
	v_add_f32_e32 v59, v59, v64
	v_fma_f32 v63, v50, s17, -v62
	v_fmac_f32_e32 v62, 0xbf7ba420, v50
	v_mul_f32_e32 v64, 0x3f7ee86f, v49
	v_add_f32_e32 v60, v60, v65
	v_add_f32_e32 v62, v62, v66
	v_fma_f32 v65, v50, s6, -v64
	v_fmac_f32_e32 v64, 0x3dbcf732, v50
	v_mul_f32_e32 v66, 0xbeb8f4ab, v49
	v_mul_f32_e32 v49, 0xbf4c4adb, v49
	v_add_f32_e32 v64, v64, v68
	v_fma_f32 v68, v50, s15, -v49
	v_fmac_f32_e32 v49, 0xbf1a4643, v50
	v_sub_f32_e32 v45, v45, v51
	v_add_f32_e32 v19, v49, v19
	v_add_f32_e32 v46, v46, v52
	v_mul_f32_e32 v49, 0xbf4c4adb, v45
	v_add_f32_e32 v63, v63, v67
	v_fma_f32 v67, v50, s14, -v66
	v_fmac_f32_e32 v66, 0x3f6eb680, v50
	v_fma_f32 v50, v46, s15, -v49
	v_fmac_f32_e32 v49, 0xbf1a4643, v46
	v_mul_f32_e32 v51, 0x3f763a35, v45
	v_add_f32_e32 v49, v49, v53
	v_fma_f32 v52, v46, s9, -v51
	v_fmac_f32_e32 v51, 0xbe8c1d8e, v46
	v_mul_f32_e32 v53, 0xbeb8f4ab, v45
	v_add_f32_e32 v50, v50, v54
	v_add_f32_e32 v51, v51, v55
	v_fma_f32 v54, v46, s14, -v53
	v_fmac_f32_e32 v53, 0x3f6eb680, v46
	v_mul_f32_e32 v55, 0xbf06c442, v45
	v_add_f32_e32 v52, v52, v56
	v_add_f32_e32 v53, v53, v57
	v_fma_f32 v56, v46, s16, -v55
	v_fmac_f32_e32 v55, 0xbf59a7d5, v46
	v_mul_f32_e32 v57, 0x3f7ee86f, v45
	v_add_f32_e32 v54, v54, v58
	v_add_f32_e32 v55, v55, v59
	v_fma_f32 v58, v46, s6, -v57
	v_fmac_f32_e32 v57, 0x3dbcf732, v46
	v_mul_f32_e32 v59, 0xbf2c7751, v45
	v_add_f32_e32 v56, v56, v60
	v_add_f32_e32 v57, v57, v62
	v_fma_f32 v60, v46, s8, -v59
	v_fmac_f32_e32 v59, 0x3f3d2fb0, v46
	v_mul_f32_e32 v62, 0xbe3c28d5, v45
	v_mul_f32_e32 v45, 0x3f65296c, v45
	v_add_f32_e32 v59, v59, v64
	v_fma_f32 v64, v46, s7, -v45
	v_fmac_f32_e32 v45, 0x3ee437d1, v46
	v_sub_f32_e32 v39, v39, v47
	v_add_f32_e32 v19, v45, v19
	v_add_f32_e32 v40, v40, v48
	v_mul_f32_e32 v45, 0xbf06c442, v39
	v_add_f32_e32 v58, v58, v63
	v_fma_f32 v63, v46, s17, -v62
	v_fmac_f32_e32 v62, 0xbf7ba420, v46
	v_fma_f32 v46, v40, s16, -v45
	v_fmac_f32_e32 v45, 0xbf59a7d5, v40
	v_mul_f32_e32 v47, 0x3f65296c, v39
	v_add_f32_e32 v45, v45, v49
	v_fma_f32 v48, v40, s7, -v47
	v_fmac_f32_e32 v47, 0x3ee437d1, v40
	v_mul_f32_e32 v49, 0xbf7ee86f, v39
	v_add_f32_e32 v46, v46, v50
	v_add_f32_e32 v47, v47, v51
	v_fma_f32 v50, v40, s6, -v49
	v_fmac_f32_e32 v49, 0x3dbcf732, v40
	v_mul_f32_e32 v51, 0x3f4c4adb, v39
	v_add_f32_e32 v48, v48, v52
	v_add_f32_e32 v49, v49, v53
	;; [unrolled: 5-line block ×4, first 2 shown]
	v_add_f32_e32 v53, v53, v57
	v_fma_f32 v56, v40, s17, -v55
	v_fmac_f32_e32 v55, 0xbf7ba420, v40
	v_mul_f32_e32 v57, 0x3f2c7751, v39
	v_mul_f32_e32 v39, 0xbf763a35, v39
	v_add_f32_e32 v82, v86, v82
	v_add_f32_e32 v79, v79, v83
	;; [unrolled: 1-line block ×3, first 2 shown]
	v_fma_f32 v59, v40, s9, -v39
	v_fmac_f32_e32 v39, 0xbe8c1d8e, v40
	v_sub_f32_e32 v33, v33, v41
	v_add_f32_e32 v78, v78, v82
	v_add_f32_e32 v72, v72, v79
	;; [unrolled: 1-line block ×4, first 2 shown]
	v_mul_f32_e32 v39, 0xbe3c28d5, v33
	v_add_f32_e32 v81, v85, v81
	v_add_f32_e32 v71, v71, v78
	;; [unrolled: 1-line block ×4, first 2 shown]
	v_fma_f32 v58, v40, s8, -v57
	v_fmac_f32_e32 v57, 0x3f3d2fb0, v40
	v_fma_f32 v40, v34, s17, -v39
	v_fmac_f32_e32 v39, 0xbf7ba420, v34
	v_add_f32_e32 v80, v84, v80
	v_add_f32_e32 v76, v76, v81
	;; [unrolled: 1-line block ×5, first 2 shown]
	v_mul_f32_e32 v39, 0x3eb8f4ab, v33
	v_add_f32_e32 v75, v75, v80
	v_add_f32_e32 v70, v70, v76
	;; [unrolled: 1-line block ×4, first 2 shown]
	v_fma_f32 v40, v34, s14, -v39
	v_fmac_f32_e32 v39, 0x3f6eb680, v34
	v_add_f32_e32 v69, v69, v75
	v_add_f32_e32 v66, v66, v70
	;; [unrolled: 1-line block ×3, first 2 shown]
	v_mul_f32_e32 v39, 0xbf06c442, v33
	v_add_f32_e32 v65, v65, v69
	v_add_f32_e32 v69, v40, v48
	v_fma_f32 v40, v34, s16, -v39
	v_fmac_f32_e32 v39, 0xbf59a7d5, v34
	v_add_f32_e32 v72, v39, v49
	v_mul_f32_e32 v39, 0x3f2c7751, v33
	v_add_f32_e32 v71, v40, v50
	v_fma_f32 v40, v34, s8, -v39
	v_fmac_f32_e32 v39, 0x3f3d2fb0, v34
	v_add_f32_e32 v76, v39, v51
	v_mul_f32_e32 v39, 0xbf4c4adb, v33
	;; [unrolled: 5-line block ×3, first 2 shown]
	v_add_f32_e32 v60, v60, v65
	v_add_f32_e32 v78, v40, v54
	v_fma_f32 v40, v34, s7, -v39
	v_fmac_f32_e32 v39, 0x3ee437d1, v34
	v_add_f32_e32 v62, v62, v66
	v_add_f32_e32 v56, v56, v60
	;; [unrolled: 1-line block ×3, first 2 shown]
	v_mul_f32_e32 v39, 0xbf763a35, v33
	v_add_f32_e32 v57, v57, v62
	v_add_f32_e32 v80, v40, v56
	v_fma_f32 v40, v34, s9, -v39
	v_fmac_f32_e32 v39, 0xbe8c1d8e, v34
	v_mul_f32_e32 v33, 0x3f7ee86f, v33
	v_add_f32_e32 v83, v39, v57
	v_fma_f32 v39, v34, s6, -v33
	v_fmac_f32_e32 v33, 0x3dbcf732, v34
	v_add_f32_e32 v85, v33, v19
	v_lshlrev_b32_e32 v19, 2, v77
	v_add3_u32 v62, 0, v19, v0
	v_add_f32_e32 v58, v58, v63
	v_add_f32_e32 v59, v59, v64
	v_add3_u32 v63, 0, v0, v19
	v_add_u32_e32 v19, 0x200, v62
	v_add_u32_e32 v64, 0x400, v62
	v_add_f32_e32 v82, v40, v58
	v_add_f32_e32 v84, v39, v59
	s_waitcnt lgkmcnt(0)
	; wave barrier
	s_waitcnt lgkmcnt(0)
	ds_read2_b32 v[33:34], v62 offset0:119 offset1:136
	ds_read2_b32 v[47:48], v19 offset0:127 offset1:144
	;; [unrolled: 1-line block ×11, first 2 shown]
	ds_read_b32 v65, v63
	ds_read_b32 v66, v62 offset:1564
	s_waitcnt lgkmcnt(0)
	; wave barrier
	s_waitcnt lgkmcnt(0)
	ds_write2_b32 v73, v74, v67 offset1:1
	ds_write2_b32 v73, v69, v71 offset0:2 offset1:3
	ds_write2_b32 v73, v75, v78 offset0:4 offset1:5
	;; [unrolled: 1-line block ×7, first 2 shown]
	ds_write_b32 v73, v68 offset:64
	s_and_saveexec_b64 s[4:5], s[0:1]
	s_cbranch_execz .LBB0_18
; %bb.17:
	v_add_f32_e32 v67, v20, v38
	v_add_f32_e32 v67, v67, v32
	;; [unrolled: 1-line block ×14, first 2 shown]
	v_sub_f32_e32 v37, v37, v43
	v_add_f32_e32 v67, v36, v67
	v_add_f32_e32 v38, v38, v44
	v_mul_f32_e32 v43, 0xbeb8f4ab, v37
	s_mov_b32 s8, 0x3f6eb680
	v_mul_f32_e32 v68, 0xbf2c7751, v37
	s_mov_b32 s6, 0x3f3d2fb0
	;; [unrolled: 2-line block ×8, first 2 shown]
	v_sub_f32_e32 v31, v31, v35
	v_add_f32_e32 v67, v44, v67
	v_fma_f32 v44, v38, s8, -v43
	v_fmac_f32_e32 v43, 0x3f6eb680, v38
	v_fma_f32 v69, v38, s6, -v68
	v_fmac_f32_e32 v68, 0x3f3d2fb0, v38
	;; [unrolled: 2-line block ×8, first 2 shown]
	v_add_f32_e32 v32, v32, v36
	v_mul_f32_e32 v35, 0xbf2c7751, v31
	v_add_f32_e32 v44, v20, v44
	v_add_f32_e32 v43, v20, v43
	v_add_f32_e32 v69, v20, v69
	v_add_f32_e32 v68, v20, v68
	v_add_f32_e32 v71, v20, v71
	v_add_f32_e32 v70, v20, v70
	v_add_f32_e32 v73, v20, v73
	v_add_f32_e32 v72, v20, v72
	v_add_f32_e32 v75, v20, v75
	v_add_f32_e32 v74, v20, v74
	v_add_f32_e32 v78, v20, v78
	v_add_f32_e32 v76, v20, v76
	v_add_f32_e32 v80, v20, v80
	v_add_f32_e32 v79, v20, v79
	v_add_f32_e32 v81, v20, v81
	v_add_f32_e32 v20, v20, v37
	v_fma_f32 v36, v32, s6, -v35
	v_fmac_f32_e32 v35, 0x3f3d2fb0, v32
	v_mul_f32_e32 v37, 0xbf7ee86f, v31
	v_add_f32_e32 v35, v43, v35
	v_fma_f32 v38, v32, s0, -v37
	v_fmac_f32_e32 v37, 0x3dbcf732, v32
	v_mul_f32_e32 v43, 0xbf4c4adb, v31
	v_add_f32_e32 v36, v44, v36
	v_add_f32_e32 v37, v68, v37
	v_fma_f32 v44, v32, s9, -v43
	v_fmac_f32_e32 v43, 0xbf1a4643, v32
	v_mul_f32_e32 v68, 0xbe3c28d5, v31
	v_add_f32_e32 v38, v69, v38
	v_add_f32_e32 v43, v70, v43
	v_fma_f32 v69, v32, s15, -v68
	v_fmac_f32_e32 v68, 0xbf7ba420, v32
	v_mul_f32_e32 v70, 0x3f06c442, v31
	v_add_f32_e32 v44, v71, v44
	v_add_f32_e32 v68, v72, v68
	v_fma_f32 v71, v32, s14, -v70
	v_fmac_f32_e32 v70, 0xbf59a7d5, v32
	v_mul_f32_e32 v72, 0x3f763a35, v31
	v_add_f32_e32 v69, v73, v69
	v_add_f32_e32 v70, v74, v70
	v_fma_f32 v73, v32, s7, -v72
	v_fmac_f32_e32 v72, 0xbe8c1d8e, v32
	v_mul_f32_e32 v74, 0x3f65296c, v31
	v_mul_f32_e32 v31, 0x3eb8f4ab, v31
	v_sub_f32_e32 v27, v27, v29
	v_add_f32_e32 v72, v76, v72
	v_fma_f32 v76, v32, s8, -v31
	v_fmac_f32_e32 v31, 0x3f6eb680, v32
	v_add_f32_e32 v28, v28, v30
	v_mul_f32_e32 v29, 0xbf65296c, v27
	v_add_f32_e32 v20, v20, v31
	v_fma_f32 v30, v28, s1, -v29
	v_fmac_f32_e32 v29, 0x3ee437d1, v28
	v_mul_f32_e32 v31, 0xbf4c4adb, v27
	v_add_f32_e32 v71, v75, v71
	v_fma_f32 v75, v32, s1, -v74
	v_fmac_f32_e32 v74, 0x3ee437d1, v32
	v_add_f32_e32 v29, v35, v29
	v_fma_f32 v32, v28, s9, -v31
	v_fmac_f32_e32 v31, 0xbf1a4643, v28
	v_mul_f32_e32 v35, 0x3e3c28d5, v27
	v_add_f32_e32 v30, v36, v30
	v_add_f32_e32 v31, v37, v31
	v_fma_f32 v36, v28, s15, -v35
	v_fmac_f32_e32 v35, 0xbf7ba420, v28
	v_mul_f32_e32 v37, 0x3f763a35, v27
	v_add_f32_e32 v32, v38, v32
	v_add_f32_e32 v35, v43, v35
	v_fma_f32 v38, v28, s7, -v37
	v_fmac_f32_e32 v37, 0xbe8c1d8e, v28
	v_mul_f32_e32 v43, 0x3f2c7751, v27
	v_add_f32_e32 v36, v44, v36
	v_add_f32_e32 v37, v68, v37
	v_fma_f32 v44, v28, s6, -v43
	v_fmac_f32_e32 v43, 0x3f3d2fb0, v28
	v_mul_f32_e32 v68, 0xbeb8f4ab, v27
	v_add_f32_e32 v38, v69, v38
	v_add_f32_e32 v43, v70, v43
	v_fma_f32 v69, v28, s8, -v68
	v_fmac_f32_e32 v68, 0x3f6eb680, v28
	v_mul_f32_e32 v70, 0xbf7ee86f, v27
	v_mul_f32_e32 v27, 0xbf06c442, v27
	v_sub_f32_e32 v23, v23, v25
	v_add_f32_e32 v68, v72, v68
	v_fma_f32 v72, v28, s14, -v27
	v_fmac_f32_e32 v27, 0xbf59a7d5, v28
	v_add_f32_e32 v24, v24, v26
	v_mul_f32_e32 v25, 0xbf7ee86f, v23
	v_add_f32_e32 v20, v20, v27
	v_fma_f32 v26, v24, s0, -v25
	v_fmac_f32_e32 v25, 0x3dbcf732, v24
	v_mul_f32_e32 v27, 0xbe3c28d5, v23
	v_add_f32_e32 v44, v71, v44
	v_fma_f32 v71, v28, s0, -v70
	v_fmac_f32_e32 v70, 0x3dbcf732, v28
	;; [unrolled: 38-line block ×3, first 2 shown]
	v_add_f32_e32 v21, v25, v21
	v_fma_f32 v24, v18, s14, -v23
	v_fmac_f32_e32 v23, 0xbf59a7d5, v18
	v_mul_f32_e32 v25, 0x3f2c7751, v17
	v_add_f32_e32 v22, v26, v22
	v_add_f32_e32 v23, v27, v23
	v_fma_f32 v26, v18, s6, -v25
	v_fmac_f32_e32 v25, 0x3f3d2fb0, v18
	v_mul_f32_e32 v27, 0xbf65296c, v17
	v_add_f32_e32 v24, v28, v24
	v_add_f32_e32 v25, v29, v25
	v_fma_f32 v28, v18, s1, -v27
	v_fmac_f32_e32 v27, 0x3ee437d1, v18
	v_mul_f32_e32 v29, 0xbe3c28d5, v17
	v_add_f32_e32 v26, v30, v26
	v_add_f32_e32 v27, v31, v27
	v_fma_f32 v30, v18, s15, -v29
	v_fmac_f32_e32 v29, 0xbf7ba420, v18
	v_mul_f32_e32 v31, 0x3f7ee86f, v17
	v_sub_f32_e32 v13, v13, v15
	v_add_f32_e32 v28, v32, v28
	v_add_f32_e32 v29, v35, v29
	v_fma_f32 v32, v18, s0, -v31
	v_fmac_f32_e32 v31, 0x3dbcf732, v18
	v_mul_f32_e32 v35, 0xbeb8f4ab, v17
	v_mul_f32_e32 v17, 0xbf4c4adb, v17
	v_add_f32_e32 v14, v14, v16
	v_mul_f32_e32 v15, 0xbf4c4adb, v13
	v_add_f32_e32 v30, v36, v30
	v_add_f32_e32 v31, v37, v31
	v_fma_f32 v36, v18, s8, -v35
	v_fmac_f32_e32 v35, 0x3f6eb680, v18
	v_fma_f32 v37, v18, s9, -v17
	v_fmac_f32_e32 v17, 0xbf1a4643, v18
	v_fma_f32 v16, v14, s9, -v15
	v_fmac_f32_e32 v15, 0xbf1a4643, v14
	v_mul_f32_e32 v18, 0x3f763a35, v13
	v_add_f32_e32 v17, v20, v17
	v_add_f32_e32 v15, v21, v15
	v_fma_f32 v20, v14, s7, -v18
	v_fmac_f32_e32 v18, 0xbe8c1d8e, v14
	v_mul_f32_e32 v21, 0xbeb8f4ab, v13
	v_add_f32_e32 v16, v22, v16
	v_add_f32_e32 v18, v23, v18
	v_fma_f32 v22, v14, s8, -v21
	v_fmac_f32_e32 v21, 0x3f6eb680, v14
	v_mul_f32_e32 v23, 0xbf06c442, v13
	v_add_f32_e32 v20, v24, v20
	v_add_f32_e32 v21, v25, v21
	v_fma_f32 v24, v14, s14, -v23
	v_fmac_f32_e32 v23, 0xbf59a7d5, v14
	v_mul_f32_e32 v25, 0x3f7ee86f, v13
	v_add_f32_e32 v22, v26, v22
	v_add_f32_e32 v23, v27, v23
	v_fma_f32 v26, v14, s0, -v25
	v_fmac_f32_e32 v25, 0x3dbcf732, v14
	v_mul_f32_e32 v27, 0xbf2c7751, v13
	v_sub_f32_e32 v9, v9, v11
	v_add_f32_e32 v24, v28, v24
	v_add_f32_e32 v25, v29, v25
	v_fma_f32 v28, v14, s6, -v27
	v_fmac_f32_e32 v27, 0x3f3d2fb0, v14
	v_mul_f32_e32 v29, 0xbe3c28d5, v13
	v_mul_f32_e32 v13, 0x3f65296c, v13
	v_add_f32_e32 v10, v10, v12
	v_mul_f32_e32 v11, 0xbf06c442, v9
	v_add_f32_e32 v26, v30, v26
	v_add_f32_e32 v27, v31, v27
	v_fma_f32 v30, v14, s15, -v29
	v_fmac_f32_e32 v29, 0xbf7ba420, v14
	v_fma_f32 v31, v14, s1, -v13
	v_fmac_f32_e32 v13, 0x3ee437d1, v14
	v_fma_f32 v12, v10, s14, -v11
	v_fmac_f32_e32 v11, 0xbf59a7d5, v10
	v_mul_f32_e32 v14, 0x3f65296c, v9
	v_add_f32_e32 v12, v16, v12
	v_add_f32_e32 v11, v15, v11
	v_fma_f32 v15, v10, s1, -v14
	v_fmac_f32_e32 v14, 0x3ee437d1, v10
	v_mul_f32_e32 v16, 0xbf7ee86f, v9
	v_add_f32_e32 v13, v17, v13
	v_add_f32_e32 v14, v18, v14
	v_fma_f32 v17, v10, s0, -v16
	v_fmac_f32_e32 v16, 0x3dbcf732, v10
	v_mul_f32_e32 v18, 0x3f4c4adb, v9
	v_add_f32_e32 v15, v20, v15
	v_add_f32_e32 v16, v21, v16
	v_fma_f32 v20, v10, s9, -v18
	v_fmac_f32_e32 v18, 0xbf1a4643, v10
	v_mul_f32_e32 v21, 0xbeb8f4ab, v9
	v_add_f32_e32 v17, v22, v17
	v_add_f32_e32 v18, v23, v18
	v_fma_f32 v22, v10, s8, -v21
	v_fmac_f32_e32 v21, 0x3f6eb680, v10
	v_mul_f32_e32 v23, 0xbe3c28d5, v9
	v_sub_f32_e32 v5, v7, v5
	v_add_f32_e32 v20, v24, v20
	v_add_f32_e32 v21, v25, v21
	v_fma_f32 v24, v10, s15, -v23
	v_fmac_f32_e32 v23, 0xbf7ba420, v10
	v_mul_f32_e32 v25, 0x3f2c7751, v9
	v_mul_f32_e32 v9, 0xbf763a35, v9
	v_add_f32_e32 v6, v8, v6
	v_mul_f32_e32 v7, 0xbe3c28d5, v5
	v_add_f32_e32 v22, v26, v22
	v_add_f32_e32 v23, v27, v23
	v_fma_f32 v26, v10, s6, -v25
	v_fmac_f32_e32 v25, 0x3f3d2fb0, v10
	v_fma_f32 v27, v10, s7, -v9
	v_fmac_f32_e32 v9, 0xbe8c1d8e, v10
	v_fma_f32 v8, v6, s15, -v7
	v_fmac_f32_e32 v7, 0xbf7ba420, v6
	v_mul_f32_e32 v10, 0x3eb8f4ab, v5
	v_add_f32_e32 v8, v12, v8
	v_add_f32_e32 v7, v11, v7
	v_fma_f32 v11, v6, s8, -v10
	v_fmac_f32_e32 v10, 0x3f6eb680, v6
	v_mul_f32_e32 v12, 0xbf06c442, v5
	v_add_f32_e32 v73, v78, v73
	v_add_f32_e32 v75, v80, v75
	v_add_f32_e32 v74, v79, v74
	v_add_f32_e32 v76, v81, v76
	v_add_f32_e32 v9, v13, v9
	v_add_f32_e32 v10, v14, v10
	v_fma_f32 v13, v6, s14, -v12
	v_fmac_f32_e32 v12, 0xbf59a7d5, v6
	v_mul_f32_e32 v14, 0x3f2c7751, v5
	v_add_f32_e32 v69, v73, v69
	v_add_f32_e32 v71, v75, v71
	v_add_f32_e32 v70, v74, v70
	v_add_f32_e32 v72, v76, v72
	v_add_f32_e32 v11, v15, v11
	;; [unrolled: 9-line block ×4, first 2 shown]
	v_add_f32_e32 v16, v21, v16
	v_fma_f32 v20, v6, s1, -v18
	v_fmac_f32_e32 v18, 0x3ee437d1, v6
	v_mul_f32_e32 v21, 0xbf763a35, v5
	v_mul_f32_e32 v5, 0x3f7ee86f, v5
	v_add_f32_e32 v28, v32, v28
	v_add_f32_e32 v30, v36, v30
	;; [unrolled: 1-line block ×6, first 2 shown]
	v_fma_f32 v22, v6, s7, -v21
	v_fmac_f32_e32 v21, 0xbe8c1d8e, v6
	v_fma_f32 v23, v6, s0, -v5
	v_fmac_f32_e32 v5, 0x3dbcf732, v6
	v_mul_u32_u24_e32 v6, 0x44, v61
	v_add_f32_e32 v24, v28, v24
	v_add_f32_e32 v26, v30, v26
	;; [unrolled: 1-line block ×4, first 2 shown]
	v_add3_u32 v6, 0, v6, v0
	v_add_f32_e32 v20, v24, v20
	v_add_f32_e32 v22, v26, v22
	;; [unrolled: 1-line block ×5, first 2 shown]
	ds_write2_b32 v6, v67, v8 offset1:1
	ds_write2_b32 v6, v11, v13 offset0:2 offset1:3
	ds_write2_b32 v6, v15, v17 offset0:4 offset1:5
	;; [unrolled: 1-line block ×7, first 2 shown]
	ds_write_b32 v6, v7 offset:64
.LBB0_18:
	s_or_b64 exec, exec, s[4:5]
	v_lshlrev_b32_e32 v5, 1, v77
	v_mov_b32_e32 v6, 0
	v_lshlrev_b64 v[7:8], 3, v[5:6]
	v_mov_b32_e32 v5, s13
	v_add_co_u32_e64 v7, s[0:1], s12, v7
	v_addc_co_u32_e64 v8, s[0:1], v5, v8, s[0:1]
	v_add_u32_e32 v5, 34, v77
	s_movk_i32 s0, 0xf1
	v_mul_lo_u16_sdwa v11, v5, s0 dst_sel:DWORD dst_unused:UNUSED_PAD src0_sel:BYTE_0 src1_sel:DWORD
	v_lshrrev_b16_e32 v11, 12, v11
	v_add_u16_e32 v15, 51, v77
	v_mul_lo_u16_e32 v11, 17, v11
	v_mul_lo_u16_sdwa v16, v15, s0 dst_sel:DWORD dst_unused:UNUSED_PAD src0_sel:BYTE_0 src1_sel:DWORD
	v_mov_b32_e32 v32, 4
	v_sub_u16_e32 v61, v5, v11
	v_lshrrev_b16_e32 v16, 12, v16
	v_add_u16_e32 v20, 0x44, v77
	s_waitcnt lgkmcnt(0)
	; wave barrier
	s_waitcnt lgkmcnt(0)
	global_load_dwordx4 v[7:10], v[7:8], off
	v_lshlrev_b32_sdwa v11, v32, v61 dst_sel:DWORD dst_unused:UNUSED_PAD src0_sel:DWORD src1_sel:BYTE_0
	v_mul_lo_u16_e32 v16, 17, v16
	v_mul_lo_u16_sdwa v21, v20, s0 dst_sel:DWORD dst_unused:UNUSED_PAD src0_sel:BYTE_0 src1_sel:DWORD
	global_load_dwordx4 v[11:14], v11, s[12:13]
	v_sub_u16_e32 v88, v15, v16
	v_lshrrev_b16_e32 v21, 12, v21
	v_add_u16_e32 v24, 0x55, v77
	v_lshlrev_b32_sdwa v15, v32, v88 dst_sel:DWORD dst_unused:UNUSED_PAD src0_sel:DWORD src1_sel:BYTE_0
	global_load_dwordx4 v[15:18], v15, s[12:13]
	v_mul_lo_u16_e32 v21, 17, v21
	v_mul_lo_u16_sdwa v25, v24, s0 dst_sel:DWORD dst_unused:UNUSED_PAD src0_sel:BYTE_0 src1_sel:DWORD
	v_sub_u16_e32 v89, v20, v21
	v_lshrrev_b16_e32 v25, 12, v25
	v_add_u16_e32 v28, 0x66, v77
	v_lshlrev_b32_sdwa v20, v32, v89 dst_sel:DWORD dst_unused:UNUSED_PAD src0_sel:DWORD src1_sel:BYTE_0
	v_mul_lo_u16_e32 v25, 17, v25
	v_mul_lo_u16_sdwa v29, v28, s0 dst_sel:DWORD dst_unused:UNUSED_PAD src0_sel:BYTE_0 src1_sel:DWORD
	global_load_dwordx4 v[20:23], v20, s[12:13]
	v_sub_u16_e32 v90, v24, v25
	v_lshrrev_b16_e32 v29, 12, v29
	v_add_u16_e32 v35, 0x77, v77
	v_lshlrev_b32_sdwa v24, v32, v90 dst_sel:DWORD dst_unused:UNUSED_PAD src0_sel:DWORD src1_sel:BYTE_0
	global_load_dwordx4 v[24:27], v24, s[12:13]
	v_mul_lo_u16_e32 v29, 17, v29
	v_mul_lo_u16_sdwa v36, v35, s0 dst_sel:DWORD dst_unused:UNUSED_PAD src0_sel:BYTE_0 src1_sel:DWORD
	v_sub_u16_e32 v91, v28, v29
	v_lshrrev_b16_e32 v36, 12, v36
	v_lshlrev_b32_sdwa v28, v32, v91 dst_sel:DWORD dst_unused:UNUSED_PAD src0_sel:DWORD src1_sel:BYTE_0
	v_mul_lo_u16_e32 v36, 17, v36
	global_load_dwordx4 v[28:31], v28, s[12:13]
	v_sub_u16_e32 v92, v35, v36
	v_lshlrev_b32_sdwa v32, v32, v92 dst_sel:DWORD dst_unused:UNUSED_PAD src0_sel:DWORD src1_sel:BYTE_0
	global_load_dwordx4 v[35:38], v32, s[12:13]
	ds_read2_b32 v[43:44], v62 offset0:119 offset1:136
	ds_read2_b32 v[67:68], v19 offset0:127 offset1:144
	;; [unrolled: 1-line block ×11, first 2 shown]
	ds_read_b32 v32, v63
	ds_read_b32 v93, v62 offset:1564
	s_waitcnt lgkmcnt(0)
	; wave barrier
	s_waitcnt vmcnt(6) lgkmcnt(0)
	v_mul_f32_e32 v94, v44, v8
	v_mul_f32_e32 v95, v34, v8
	;; [unrolled: 1-line block ×8, first 2 shown]
	v_fmac_f32_e32 v94, v34, v7
	v_fma_f32 v34, v44, v7, -v95
	v_fmac_f32_e32 v96, v48, v9
	v_fma_f32 v44, v68, v9, -v97
	;; [unrolled: 2-line block ×4, first 2 shown]
	s_waitcnt vmcnt(5)
	v_mul_f32_e32 v9, v72, v12
	v_mul_f32_e32 v10, v60, v12
	v_fmac_f32_e32 v9, v60, v11
	v_fma_f32 v10, v72, v11, -v10
	v_mul_f32_e32 v11, v74, v14
	v_mul_f32_e32 v12, v58, v14
	v_fmac_f32_e32 v11, v58, v13
	v_fma_f32 v12, v74, v13, -v12
	s_waitcnt vmcnt(4)
	v_mul_f32_e32 v13, v78, v16
	v_mul_f32_e32 v14, v55, v16
	v_fmac_f32_e32 v13, v55, v15
	v_fma_f32 v14, v78, v15, -v14
	v_mul_f32_e32 v15, v80, v18
	v_mul_f32_e32 v16, v53, v18
	v_fmac_f32_e32 v15, v53, v17
	v_fma_f32 v16, v80, v17, -v16
	;; [unrolled: 9-line block ×5, first 2 shown]
	s_waitcnt vmcnt(0)
	v_mul_f32_e32 v30, v67, v36
	v_mul_f32_e32 v31, v47, v36
	v_fmac_f32_e32 v30, v47, v35
	v_fma_f32 v31, v67, v35, -v31
	v_mul_f32_e32 v35, v93, v38
	v_mul_f32_e32 v36, v66, v38
	v_add_f32_e32 v38, v94, v96
	v_fmac_f32_e32 v35, v66, v37
	v_fma_f32 v36, v93, v37, -v36
	v_add_f32_e32 v37, v65, v94
	v_fmac_f32_e32 v65, -0.5, v38
	v_sub_f32_e32 v38, v34, v44
	v_mov_b32_e32 v47, v65
	v_fmac_f32_e32 v47, 0xbf5db3d7, v38
	v_fmac_f32_e32 v65, 0x3f5db3d7, v38
	v_add_f32_e32 v38, v32, v34
	v_add_f32_e32 v34, v34, v44
	v_fmac_f32_e32 v32, -0.5, v34
	v_add_f32_e32 v38, v38, v44
	v_sub_f32_e32 v34, v94, v96
	v_mov_b32_e32 v44, v32
	v_add_f32_e32 v48, v98, v99
	v_fmac_f32_e32 v44, 0x3f5db3d7, v34
	v_fmac_f32_e32 v32, 0xbf5db3d7, v34
	v_add_f32_e32 v34, v45, v98
	v_fma_f32 v45, -0.5, v48, v45
	v_sub_f32_e32 v48, v7, v8
	v_mov_b32_e32 v49, v45
	v_fmac_f32_e32 v49, 0xbf5db3d7, v48
	v_fmac_f32_e32 v45, 0x3f5db3d7, v48
	v_add_f32_e32 v48, v69, v7
	v_add_f32_e32 v7, v7, v8
	v_fma_f32 v50, -0.5, v7, v69
	v_add_f32_e32 v48, v48, v8
	v_sub_f32_e32 v7, v98, v99
	v_mov_b32_e32 v51, v50
	v_add_f32_e32 v8, v9, v11
	v_fmac_f32_e32 v51, 0x3f5db3d7, v7
	v_fmac_f32_e32 v50, 0xbf5db3d7, v7
	v_add_f32_e32 v7, v46, v9
	v_fmac_f32_e32 v46, -0.5, v8
	v_sub_f32_e32 v8, v10, v12
	v_mov_b32_e32 v52, v46
	v_fmac_f32_e32 v52, 0xbf5db3d7, v8
	v_fmac_f32_e32 v46, 0x3f5db3d7, v8
	v_add_f32_e32 v8, v70, v10
	v_add_f32_e32 v53, v8, v12
	;; [unrolled: 1-line block ×3, first 2 shown]
	v_fmac_f32_e32 v70, -0.5, v8
	v_sub_f32_e32 v8, v9, v11
	v_add_f32_e32 v9, v13, v15
	v_fma_f32 v9, -0.5, v9, v41
	v_add_f32_e32 v7, v7, v11
	v_sub_f32_e32 v10, v14, v16
	v_mov_b32_e32 v11, v9
	v_mov_b32_e32 v54, v70
	v_fmac_f32_e32 v11, 0xbf5db3d7, v10
	v_fmac_f32_e32 v9, 0x3f5db3d7, v10
	v_add_f32_e32 v10, v75, v14
	v_fmac_f32_e32 v54, 0x3f5db3d7, v8
	v_fmac_f32_e32 v70, 0xbf5db3d7, v8
	v_add_f32_e32 v8, v41, v13
	v_add_f32_e32 v41, v10, v16
	;; [unrolled: 1-line block ×3, first 2 shown]
	v_fma_f32 v55, -0.5, v10, v75
	v_sub_f32_e32 v10, v13, v15
	v_mov_b32_e32 v56, v55
	v_add_f32_e32 v12, v17, v20
	v_fmac_f32_e32 v56, 0x3f5db3d7, v10
	v_fmac_f32_e32 v55, 0xbf5db3d7, v10
	v_add_f32_e32 v10, v42, v17
	v_fmac_f32_e32 v42, -0.5, v12
	v_sub_f32_e32 v12, v18, v21
	v_mov_b32_e32 v13, v42
	v_fmac_f32_e32 v13, 0xbf5db3d7, v12
	v_fmac_f32_e32 v42, 0x3f5db3d7, v12
	v_add_f32_e32 v12, v76, v18
	v_add_f32_e32 v14, v22, v24
	;; [unrolled: 1-line block ×4, first 2 shown]
	v_fma_f32 v14, -0.5, v14, v39
	v_add_f32_e32 v8, v8, v15
	v_fmac_f32_e32 v76, -0.5, v12
	v_sub_f32_e32 v15, v23, v25
	v_mov_b32_e32 v16, v14
	v_sub_f32_e32 v12, v17, v20
	v_mov_b32_e32 v58, v76
	v_fmac_f32_e32 v16, 0xbf5db3d7, v15
	v_fmac_f32_e32 v14, 0x3f5db3d7, v15
	v_add_f32_e32 v15, v82, v23
	v_fmac_f32_e32 v58, 0x3f5db3d7, v12
	v_fmac_f32_e32 v76, 0xbf5db3d7, v12
	v_add_f32_e32 v12, v39, v22
	v_add_f32_e32 v39, v15, v25
	;; [unrolled: 1-line block ×3, first 2 shown]
	v_fma_f32 v59, -0.5, v15, v82
	v_sub_f32_e32 v15, v22, v24
	v_mov_b32_e32 v60, v59
	v_add_f32_e32 v17, v26, v28
	v_fmac_f32_e32 v60, 0x3f5db3d7, v15
	v_fmac_f32_e32 v59, 0xbf5db3d7, v15
	v_add_f32_e32 v15, v40, v26
	v_fmac_f32_e32 v40, -0.5, v17
	v_sub_f32_e32 v17, v27, v29
	v_mov_b32_e32 v18, v40
	v_fmac_f32_e32 v18, 0xbf5db3d7, v17
	v_fmac_f32_e32 v40, 0x3f5db3d7, v17
	v_add_f32_e32 v17, v83, v27
	v_add_f32_e32 v66, v17, v29
	;; [unrolled: 1-line block ×3, first 2 shown]
	v_fmac_f32_e32 v83, -0.5, v17
	v_add_f32_e32 v10, v10, v20
	v_sub_f32_e32 v17, v26, v28
	v_mov_b32_e32 v67, v83
	v_add_f32_e32 v20, v30, v35
	v_fmac_f32_e32 v67, 0x3f5db3d7, v17
	v_fmac_f32_e32 v83, 0xbf5db3d7, v17
	v_add_f32_e32 v17, v33, v30
	v_fmac_f32_e32 v33, -0.5, v20
	v_sub_f32_e32 v20, v31, v36
	v_mov_b32_e32 v21, v33
	v_fmac_f32_e32 v21, 0xbf5db3d7, v20
	v_fmac_f32_e32 v33, 0x3f5db3d7, v20
	v_add_f32_e32 v20, v43, v31
	v_add_f32_e32 v68, v20, v36
	;; [unrolled: 1-line block ×3, first 2 shown]
	v_fmac_f32_e32 v43, -0.5, v20
	v_sub_f32_e32 v20, v30, v35
	v_mov_b32_e32 v30, v43
	v_fmac_f32_e32 v30, 0x3f5db3d7, v20
	v_fmac_f32_e32 v43, 0xbf5db3d7, v20
	v_mov_b32_e32 v20, 2
	v_lshlrev_b32_sdwa v22, v20, v61 dst_sel:DWORD dst_unused:UNUSED_PAD src0_sel:DWORD src1_sel:BYTE_0
	v_add_f32_e32 v37, v37, v96
	v_add3_u32 v31, 0, v22, v0
	v_add_f32_e32 v34, v34, v99
	ds_write2_b32 v62, v37, v47 offset1:17
	ds_write2_b32 v62, v65, v34 offset0:34 offset1:51
	ds_write2_b32 v62, v49, v45 offset0:68 offset1:85
	;; [unrolled: 1-line block ×3, first 2 shown]
	ds_write_b32 v31, v46 offset:544
	v_lshlrev_b32_sdwa v7, v20, v88 dst_sel:DWORD dst_unused:UNUSED_PAD src0_sel:DWORD src1_sel:BYTE_0
	v_add3_u32 v34, 0, v7, v0
	v_lshlrev_b32_sdwa v7, v20, v89 dst_sel:DWORD dst_unused:UNUSED_PAD src0_sel:DWORD src1_sel:BYTE_0
	v_add_f32_e32 v17, v17, v35
	v_add3_u32 v35, 0, v7, v0
	v_lshlrev_b32_sdwa v7, v20, v90 dst_sel:DWORD dst_unused:UNUSED_PAD src0_sel:DWORD src1_sel:BYTE_0
	v_add3_u32 v36, 0, v7, v0
	v_lshlrev_b32_sdwa v7, v20, v91 dst_sel:DWORD dst_unused:UNUSED_PAD src0_sel:DWORD src1_sel:BYTE_0
	ds_write2_b32 v34, v8, v11 offset0:153 offset1:170
	ds_write_b32 v34, v9 offset:748
	ds_write2_b32 v35, v10, v13 offset0:204 offset1:221
	ds_write_b32 v35, v42 offset:952
	v_add3_u32 v42, 0, v7, v0
	v_add_f32_e32 v12, v12, v24
	v_add_f32_e32 v15, v15, v28
	v_add_u32_e32 v37, 0x200, v36
	v_add_u32_e32 v45, 0x400, v42
	v_lshlrev_b32_sdwa v7, v20, v92 dst_sel:DWORD dst_unused:UNUSED_PAD src0_sel:DWORD src1_sel:BYTE_0
	ds_write2_b32 v37, v12, v16 offset0:127 offset1:144
	ds_write_b32 v36, v14 offset:1156
	ds_write2_b32 v45, v15, v18 offset0:50 offset1:67
	ds_write_b32 v42, v40 offset:1360
	v_add3_u32 v40, 0, v7, v0
	v_add_u32_e32 v46, 0x400, v40
	ds_write2_b32 v46, v17, v21 offset0:101 offset1:118
	ds_write_b32 v40, v33 offset:1564
	s_waitcnt lgkmcnt(0)
	; wave barrier
	s_waitcnt lgkmcnt(0)
	ds_read2_b32 v[13:14], v62 offset0:51 offset1:68
	ds_read2_b32 v[9:10], v62 offset0:85 offset1:102
	;; [unrolled: 1-line block ×11, first 2 shown]
	ds_read_b32 v0, v63
	ds_read_b32 v29, v62 offset:1564
	s_waitcnt lgkmcnt(0)
	; wave barrier
	s_waitcnt lgkmcnt(0)
	ds_write2_b32 v62, v38, v44 offset1:17
	ds_write2_b32 v62, v32, v48 offset0:34 offset1:51
	ds_write2_b32 v62, v51, v50 offset0:68 offset1:85
	;; [unrolled: 1-line block ×3, first 2 shown]
	ds_write_b32 v31, v70 offset:544
	ds_write2_b32 v34, v41, v56 offset0:153 offset1:170
	ds_write_b32 v34, v55 offset:748
	ds_write2_b32 v35, v57, v58 offset0:204 offset1:221
	;; [unrolled: 2-line block ×5, first 2 shown]
	ds_write_b32 v40, v43 offset:1564
	s_waitcnt lgkmcnt(0)
	; wave barrier
	s_waitcnt lgkmcnt(0)
	s_and_saveexec_b64 s[0:1], vcc
	s_cbranch_execz .LBB0_20
; %bb.19:
	v_mul_u32_u24_e32 v30, 7, v5
	v_lshlrev_b32_e32 v42, 3, v30
	global_load_dwordx4 v[30:33], v42, s[12:13] offset:288
	global_load_dwordx4 v[34:37], v42, s[12:13] offset:272
	;; [unrolled: 1-line block ×3, first 2 shown]
	global_load_dwordx2 v[54:55], v42, s[12:13] offset:320
	v_mov_b32_e32 v42, 0xffffff89
	v_mad_u32_u24 v5, v5, 7, v42
	v_mul_lo_u32 v44, s3, v3
	v_mul_lo_u32 v45, s2, v4
	v_mad_u64_u32 v[3:4], s[0:1], s2, v3, 0
	v_lshlrev_b64 v[42:43], 3, v[5:6]
	v_mov_b32_e32 v46, s13
	v_add_co_u32_e32 v72, vcc, s12, v42
	v_addc_co_u32_e32 v73, vcc, v46, v43, vcc
	ds_read2_b32 v[56:57], v62 offset0:17 offset1:34
	ds_read2_b32 v[58:59], v62 offset0:221 offset1:238
	;; [unrolled: 1-line block ×3, first 2 shown]
	v_add_u32_e32 v76, 0x400, v62
	ds_read2_b32 v[64:65], v62 offset0:85 offset1:102
	ds_read2_b32 v[66:67], v62 offset0:187 offset1:204
	ds_read_b32 v78, v62 offset:1564
	ds_read_b32 v92, v63
	ds_read2_b32 v[68:69], v76 offset0:67 offset1:84
	ds_read2_b32 v[70:71], v76 offset0:33 offset1:50
	v_add3_u32 v4, v4, v45, v44
	global_load_dwordx2 v[74:75], v[72:73], off offset:320
	global_load_dwordx4 v[42:45], v[72:73], off offset:304
	global_load_dwordx4 v[46:49], v[72:73], off offset:288
	;; [unrolled: 1-line block ×3, first 2 shown]
	ds_read2_b32 v[84:85], v62 offset0:51 offset1:68
	s_mov_b32 s2, 0xa0a0a0a1
	v_lshlrev_b64 v[3:4], 3, v[3:4]
	s_movk_i32 s3, 0x198
	v_add_co_u32_e32 v3, vcc, s10, v3
	s_waitcnt vmcnt(7)
	v_mul_f32_e32 v5, v24, v33
	s_waitcnt vmcnt(6)
	v_mul_f32_e32 v63, v26, v36
	;; [unrolled: 2-line block ×3, first 2 shown]
	v_mul_f32_e32 v73, v9, v35
	v_mul_f32_e32 v79, v11, v39
	v_mul_f32_e32 v80, v7, v30
	s_waitcnt vmcnt(4)
	v_mul_f32_e32 v81, v29, v54
	s_waitcnt lgkmcnt(8)
	v_mul_f32_e32 v33, v59, v33
	v_fma_f32 v5, v59, v32, -v5
	s_waitcnt lgkmcnt(7)
	v_fmac_f32_e32 v63, v61, v37
	s_waitcnt lgkmcnt(2)
	v_fmac_f32_e32 v72, v69, v41
	v_mul_f32_e32 v7, v7, v31
	v_mul_f32_e32 v29, v29, v55
	;; [unrolled: 1-line block ×3, first 2 shown]
	s_waitcnt lgkmcnt(1)
	v_mul_f32_e32 v39, v70, v39
	v_mul_f32_e32 v26, v26, v37
	;; [unrolled: 1-line block ×3, first 2 shown]
	v_fma_f32 v37, v64, v34, -v73
	v_fma_f32 v41, v70, v38, -v79
	v_fmac_f32_e32 v80, v66, v31
	v_fmac_f32_e32 v81, v78, v55
	;; [unrolled: 1-line block ×3, first 2 shown]
	v_sub_f32_e32 v5, v57, v5
	v_sub_f32_e32 v24, v63, v72
	v_fma_f32 v7, v66, v30, -v7
	v_fma_f32 v29, v78, v54, -v29
	v_fmac_f32_e32 v35, v9, v34
	v_fmac_f32_e32 v39, v11, v38
	v_fma_f32 v9, v61, v36, -v26
	v_fma_f32 v11, v69, v40, -v28
	v_sub_f32_e32 v26, v37, v41
	v_sub_f32_e32 v28, v80, v81
	;; [unrolled: 1-line block ×8, first 2 shown]
	v_fma_f32 v38, v57, 2.0, -v5
	v_fma_f32 v5, v5, 2.0, -v32
	v_add_f32_e32 v34, v30, v29
	v_add_f32_e32 v36, v31, v11
	v_fma_f32 v9, v9, 2.0, -v11
	v_fma_f32 v11, v35, 2.0, -v30
	;; [unrolled: 1-line block ×4, first 2 shown]
	v_mov_b32_e32 v73, v5
	v_fma_f32 v7, v7, 2.0, -v29
	v_fmac_f32_e32 v73, 0xbf3504f3, v26
	v_fma_f32 v29, v30, 2.0, -v34
	v_fmac_f32_e32 v73, 0xbf3504f3, v29
	v_fma_f32 v79, v5, 2.0, -v73
	v_fma_f32 v5, v31, 2.0, -v36
	v_mov_b32_e32 v72, v5
	v_fma_f32 v22, v22, 2.0, -v31
	v_fma_f32 v24, v63, 2.0, -v24
	v_fmac_f32_e32 v72, 0xbf3504f3, v29
	v_sub_f32_e32 v9, v38, v9
	v_sub_f32_e32 v24, v22, v24
	;; [unrolled: 1-line block ×3, first 2 shown]
	v_fmac_f32_e32 v72, 0x3f3504f3, v26
	v_add_f32_e32 v54, v24, v7
	v_fma_f32 v78, v5, 2.0, -v72
	v_fma_f32 v5, v38, 2.0, -v9
	;; [unrolled: 1-line block ×3, first 2 shown]
	v_mov_b32_e32 v41, v32
	v_mov_b32_e32 v40, v36
	v_sub_f32_e32 v81, v5, v7
	v_fma_f32 v28, v80, 2.0, -v28
	v_fmac_f32_e32 v41, 0x3f3504f3, v33
	v_fmac_f32_e32 v40, 0x3f3504f3, v34
	v_fma_f32 v63, v24, 2.0, -v54
	v_fma_f32 v83, v5, 2.0, -v81
	;; [unrolled: 1-line block ×3, first 2 shown]
	s_waitcnt vmcnt(0)
	v_mul_f32_e32 v22, v14, v51
	v_mul_u32_u24_e32 v24, 7, v77
	v_sub_f32_e32 v28, v11, v28
	v_fmac_f32_e32 v41, 0xbf3504f3, v34
	v_fmac_f32_e32 v40, 0x3f3504f3, v33
	s_waitcnt lgkmcnt(0)
	v_fma_f32 v57, v85, v50, -v22
	v_add_u32_e32 v22, 0x200, v62
	v_lshlrev_b32_e32 v24, 3, v24
	v_sub_f32_e32 v55, v9, v28
	v_fma_f32 v70, v32, 2.0, -v41
	v_fma_f32 v69, v36, 2.0, -v40
	;; [unrolled: 1-line block ×3, first 2 shown]
	global_load_dwordx4 v[28:31], v24, s[12:13] offset:288
	ds_read2_b32 v[86:87], v22 offset0:127 offset1:144
	global_load_dwordx4 v[32:35], v24, s[12:13] offset:272
	global_load_dwordx2 v[88:89], v24, s[12:13] offset:320
	global_load_dwordx4 v[36:39], v24, s[12:13] offset:304
	ds_read2_b32 v[61:62], v62 offset0:153 offset1:170
	ds_read2_b32 v[90:91], v76 offset0:101 offset1:118
	v_mul_f32_e32 v22, v16, v43
	v_sub_f32_e32 v80, v5, v7
	s_waitcnt lgkmcnt(2)
	v_fma_f32 v22, v87, v42, -v22
	v_fma_f32 v64, v9, 2.0, -v55
	v_fma_f32 v82, v5, 2.0, -v80
	v_mul_f32_e32 v5, v23, v49
	v_mul_f32_e32 v7, v25, v52
	;; [unrolled: 1-line block ×3, first 2 shown]
	v_sub_f32_e32 v59, v57, v22
	v_mul_f32_e32 v22, v18, v46
	v_mul_f32_e32 v18, v18, v47
	v_fma_f32 v5, v58, v48, -v5
	v_fmac_f32_e32 v7, v60, v53
	v_fmac_f32_e32 v9, v68, v45
	v_mul_f32_e32 v24, v20, v74
	s_waitcnt lgkmcnt(1)
	v_fma_f32 v18, v62, v46, -v18
	v_mul_f32_e32 v46, v85, v51
	v_sub_f32_e32 v5, v56, v5
	v_sub_f32_e32 v9, v7, v9
	v_fmac_f32_e32 v22, v62, v47
	s_waitcnt lgkmcnt(0)
	v_fmac_f32_e32 v24, v91, v75
	v_mul_f32_e32 v20, v20, v75
	v_fmac_f32_e32 v46, v14, v50
	v_mul_f32_e32 v14, v87, v43
	v_sub_f32_e32 v11, v5, v9
	v_sub_f32_e32 v66, v22, v24
	v_fma_f32 v20, v91, v74, -v20
	v_fmac_f32_e32 v14, v16, v42
	v_mul_f32_e32 v25, v25, v53
	v_sub_f32_e32 v76, v59, v66
	v_mov_b32_e32 v24, v11
	v_sub_f32_e32 v20, v18, v20
	v_sub_f32_e32 v14, v46, v14
	v_fma_f32 v42, v60, v52, -v25
	v_mul_f32_e32 v25, v27, v45
	v_fmac_f32_e32 v24, 0x3f3504f3, v76
	v_add_f32_e32 v16, v14, v20
	v_fma_f32 v25, v68, v44, -v25
	v_fmac_f32_e32 v24, 0xbf3504f3, v16
	v_sub_f32_e32 v27, v42, v25
	v_mul_f32_e32 v25, v58, v49
	v_fma_f32 v49, v56, 2.0, -v5
	v_fma_f32 v5, v5, 2.0, -v11
	;; [unrolled: 1-line block ×3, first 2 shown]
	v_fmac_f32_e32 v25, v23, v48
	v_fma_f32 v11, v59, 2.0, -v76
	v_mov_b32_e32 v45, v5
	v_sub_f32_e32 v44, v21, v25
	v_fma_f32 v50, v46, 2.0, -v14
	v_fmac_f32_e32 v45, 0xbf3504f3, v11
	v_fma_f32 v14, v14, 2.0, -v16
	v_add_f32_e32 v48, v44, v27
	v_fmac_f32_e32 v45, 0xbf3504f3, v14
	v_fma_f32 v47, v5, 2.0, -v45
	v_fma_f32 v5, v44, 2.0, -v48
	v_fma_f32 v53, v21, 2.0, -v44
	v_mov_b32_e32 v44, v5
	v_fma_f32 v27, v42, 2.0, -v27
	v_fma_f32 v7, v7, 2.0, -v9
	;; [unrolled: 1-line block ×4, first 2 shown]
	v_fmac_f32_e32 v44, 0xbf3504f3, v14
	v_sub_f32_e32 v27, v49, v27
	v_sub_f32_e32 v18, v9, v18
	v_fmac_f32_e32 v44, 0x3f3504f3, v11
	v_mov_b32_e32 v23, v48
	v_fma_f32 v22, v22, 2.0, -v66
	v_sub_f32_e32 v7, v53, v7
	v_fma_f32 v46, v5, 2.0, -v44
	v_fma_f32 v5, v49, 2.0, -v27
	;; [unrolled: 1-line block ×3, first 2 shown]
	v_fmac_f32_e32 v23, 0x3f3504f3, v16
	v_sub_f32_e32 v52, v50, v22
	v_add_f32_e32 v21, v7, v18
	v_sub_f32_e32 v49, v5, v9
	v_fmac_f32_e32 v23, 0x3f3504f3, v76
	v_fma_f32 v42, v7, 2.0, -v21
	v_fma_f32 v51, v5, 2.0, -v49
	;; [unrolled: 1-line block ×5, first 2 shown]
	v_sub_f32_e32 v22, v27, v52
	v_sub_f32_e32 v48, v5, v7
	s_waitcnt vmcnt(2)
	v_mul_f32_e32 v7, v10, v34
	s_waitcnt vmcnt(0)
	v_mul_f32_e32 v9, v12, v38
	v_mul_f32_e32 v11, v17, v29
	v_fma_f32 v43, v27, 2.0, -v22
	v_fmac_f32_e32 v7, v65, v35
	v_fmac_f32_e32 v9, v71, v39
	v_mul_f32_e32 v27, v17, v28
	v_fma_f32 v17, v61, v28, -v11
	v_mul_f32_e32 v28, v84, v33
	v_mul_f32_e32 v10, v10, v35
	v_sub_f32_e32 v14, v7, v9
	v_mul_f32_e32 v9, v13, v33
	v_fmac_f32_e32 v28, v13, v32
	v_fma_f32 v13, v65, v34, -v10
	v_mul_f32_e32 v10, v12, v39
	v_fma_f32 v18, v84, v32, -v9
	v_mul_f32_e32 v9, v15, v37
	v_mul_f32_e32 v11, v19, v89
	v_fma_f32 v10, v71, v38, -v10
	v_fma_f32 v50, v5, 2.0, -v48
	v_mul_f32_e32 v5, v8, v31
	v_fma_f32 v9, v86, v36, -v9
	v_fma_f32 v11, v90, v88, -v11
	v_sub_f32_e32 v12, v13, v10
	v_mul_f32_e32 v10, v67, v31
	v_fma_f32 v5, v67, v30, -v5
	v_sub_f32_e32 v20, v18, v9
	v_mul_f32_e32 v9, v19, v88
	v_sub_f32_e32 v19, v17, v11
	v_mul_f32_e32 v11, v86, v37
	v_fmac_f32_e32 v10, v8, v30
	v_sub_f32_e32 v5, v92, v5
	v_fmac_f32_e32 v27, v61, v29
	v_fmac_f32_e32 v9, v90, v89
	;; [unrolled: 1-line block ×3, first 2 shown]
	v_sub_f32_e32 v30, v0, v10
	v_sub_f32_e32 v16, v5, v14
	;; [unrolled: 1-line block ×4, first 2 shown]
	v_add_f32_e32 v31, v30, v12
	v_fma_f32 v33, v92, 2.0, -v5
	v_fma_f32 v12, v13, 2.0, -v12
	v_sub_f32_e32 v53, v20, v52
	v_sub_f32_e32 v34, v33, v12
	v_fma_f32 v35, v28, 2.0, -v29
	v_fma_f32 v12, v27, 2.0, -v52
	;; [unrolled: 1-line block ×3, first 2 shown]
	v_add_f32_e32 v32, v29, v19
	v_sub_f32_e32 v27, v35, v12
	v_fma_f32 v28, v18, 2.0, -v20
	v_fma_f32 v12, v17, 2.0, -v19
	;; [unrolled: 1-line block ×3, first 2 shown]
	v_mov_b32_e32 v17, v5
	v_mov_b32_e32 v9, v16
	v_fmac_f32_e32 v17, 0xbf3504f3, v18
	v_fma_f32 v20, v29, 2.0, -v32
	v_fmac_f32_e32 v9, 0x3f3504f3, v53
	v_fmac_f32_e32 v17, 0xbf3504f3, v20
	;; [unrolled: 1-line block ×3, first 2 shown]
	v_fma_f32 v19, v5, 2.0, -v17
	v_fma_f32 v5, v30, 2.0, -v31
	;; [unrolled: 1-line block ×5, first 2 shown]
	v_mov_b32_e32 v16, v5
	v_sub_f32_e32 v7, v0, v7
	v_sub_f32_e32 v36, v28, v12
	v_fmac_f32_e32 v16, 0xbf3504f3, v20
	v_mul_hi_u32 v29, v77, s2
	v_add_f32_e32 v12, v7, v36
	v_fmac_f32_e32 v16, 0x3f3504f3, v18
	v_fma_f32 v14, v7, 2.0, -v12
	v_fma_f32 v18, v5, 2.0, -v16
	;; [unrolled: 1-line block ×6, first 2 shown]
	v_sub_f32_e32 v13, v34, v27
	v_sub_f32_e32 v28, v5, v20
	;; [unrolled: 1-line block ×3, first 2 shown]
	v_fma_f32 v30, v5, 2.0, -v28
	v_lshrrev_b32_e32 v5, 5, v29
	v_fma_f32 v29, v0, 2.0, -v27
	v_mov_b32_e32 v0, s11
	v_addc_co_u32_e32 v4, vcc, v0, v4, vcc
	v_lshlrev_b64 v[0:1], 3, v[1:2]
	v_add_u32_e32 v2, 17, v77
	v_mul_lo_u32 v5, v5, 51
	v_add_co_u32_e32 v7, vcc, v3, v0
	v_mul_hi_u32 v3, v2, s2
	v_sub_u32_e32 v5, v77, v5
	v_lshlrev_b32_e32 v0, 3, v5
	v_mov_b32_e32 v8, v31
	v_lshrrev_b32_e32 v3, 5, v3
	v_mul_lo_u32 v5, v3, 51
	v_fmac_f32_e32 v8, 0x3f3504f3, v32
	v_addc_co_u32_e32 v4, vcc, v4, v1, vcc
	v_sub_u32_e32 v2, v2, v5
	v_mad_u64_u32 v[2:3], s[0:1], v3, s3, v[2:3]
	v_fmac_f32_e32 v8, 0x3f3504f3, v53
	v_add_co_u32_e32 v0, vcc, v7, v0
	v_fma_f32 v10, v31, 2.0, -v8
	v_addc_co_u32_e32 v1, vcc, 0, v4, vcc
	v_mov_b32_e32 v3, v6
	v_fma_f32 v15, v34, 2.0, -v13
	global_store_dwordx2 v[0:1], v[29:30], off
	global_store_dwordx2 v[0:1], v[18:19], off offset:408
	global_store_dwordx2 v[0:1], v[14:15], off offset:816
	;; [unrolled: 1-line block ×7, first 2 shown]
	v_lshlrev_b64 v[0:1], 3, v[2:3]
	v_add_u32_e32 v5, 51, v2
	v_add_co_u32_e32 v0, vcc, v7, v0
	v_addc_co_u32_e32 v1, vcc, v4, v1, vcc
	global_store_dwordx2 v[0:1], v[50:51], off
	v_lshlrev_b64 v[0:1], 3, v[5:6]
	v_add_u32_e32 v5, 0x66, v2
	v_add_co_u32_e32 v0, vcc, v7, v0
	v_addc_co_u32_e32 v1, vcc, v4, v1, vcc
	global_store_dwordx2 v[0:1], v[46:47], off
	;; [unrolled: 5-line block ×5, first 2 shown]
	v_lshlrev_b64 v[0:1], 3, v[5:6]
	v_add_u32_e32 v5, 0x132, v2
	v_add_co_u32_e32 v0, vcc, v7, v0
	v_addc_co_u32_e32 v1, vcc, v4, v1, vcc
	v_add_u32_e32 v3, 34, v77
	global_store_dwordx2 v[0:1], v[44:45], off
	v_lshlrev_b64 v[0:1], 3, v[5:6]
	v_mul_hi_u32 v5, v3, s2
	v_add_co_u32_e32 v0, vcc, v7, v0
	v_addc_co_u32_e32 v1, vcc, v4, v1, vcc
	v_lshrrev_b32_e32 v8, 5, v5
	v_mul_lo_u32 v9, v8, 51
	v_add_u32_e32 v5, 0x165, v2
	global_store_dwordx2 v[0:1], v[21:22], off
	v_lshlrev_b64 v[0:1], 3, v[5:6]
	v_sub_u32_e32 v2, v3, v9
	v_mad_u64_u32 v[2:3], s[0:1], v8, s3, v[2:3]
	v_add_co_u32_e32 v0, vcc, v7, v0
	v_addc_co_u32_e32 v1, vcc, v4, v1, vcc
	v_mov_b32_e32 v3, v6
	global_store_dwordx2 v[0:1], v[23:24], off
	v_lshlrev_b64 v[0:1], 3, v[2:3]
	v_add_u32_e32 v5, 51, v2
	v_add_co_u32_e32 v0, vcc, v7, v0
	v_addc_co_u32_e32 v1, vcc, v4, v1, vcc
	global_store_dwordx2 v[0:1], v[82:83], off
	v_lshlrev_b64 v[0:1], 3, v[5:6]
	v_add_u32_e32 v5, 0x66, v2
	v_add_co_u32_e32 v0, vcc, v7, v0
	v_addc_co_u32_e32 v1, vcc, v4, v1, vcc
	;; [unrolled: 5-line block ×7, first 2 shown]
	global_store_dwordx2 v[0:1], v[54:55], off
	v_lshlrev_b64 v[0:1], 3, v[5:6]
	v_add_co_u32_e32 v0, vcc, v7, v0
	v_addc_co_u32_e32 v1, vcc, v4, v1, vcc
	global_store_dwordx2 v[0:1], v[40:41], off
.LBB0_20:
	s_endpgm
	.section	.rodata,"a",@progbits
	.p2align	6, 0x0
	.amdhsa_kernel fft_rtc_back_len408_factors_17_3_8_wgs_51_tpt_17_halfLds_sp_op_CI_CI_unitstride_sbrr_dirReg
		.amdhsa_group_segment_fixed_size 0
		.amdhsa_private_segment_fixed_size 0
		.amdhsa_kernarg_size 104
		.amdhsa_user_sgpr_count 6
		.amdhsa_user_sgpr_private_segment_buffer 1
		.amdhsa_user_sgpr_dispatch_ptr 0
		.amdhsa_user_sgpr_queue_ptr 0
		.amdhsa_user_sgpr_kernarg_segment_ptr 1
		.amdhsa_user_sgpr_dispatch_id 0
		.amdhsa_user_sgpr_flat_scratch_init 0
		.amdhsa_user_sgpr_private_segment_size 0
		.amdhsa_uses_dynamic_stack 0
		.amdhsa_system_sgpr_private_segment_wavefront_offset 0
		.amdhsa_system_sgpr_workgroup_id_x 1
		.amdhsa_system_sgpr_workgroup_id_y 0
		.amdhsa_system_sgpr_workgroup_id_z 0
		.amdhsa_system_sgpr_workgroup_info 0
		.amdhsa_system_vgpr_workitem_id 0
		.amdhsa_next_free_vgpr 113
		.amdhsa_next_free_sgpr 28
		.amdhsa_reserve_vcc 1
		.amdhsa_reserve_flat_scratch 0
		.amdhsa_float_round_mode_32 0
		.amdhsa_float_round_mode_16_64 0
		.amdhsa_float_denorm_mode_32 3
		.amdhsa_float_denorm_mode_16_64 3
		.amdhsa_dx10_clamp 1
		.amdhsa_ieee_mode 1
		.amdhsa_fp16_overflow 0
		.amdhsa_exception_fp_ieee_invalid_op 0
		.amdhsa_exception_fp_denorm_src 0
		.amdhsa_exception_fp_ieee_div_zero 0
		.amdhsa_exception_fp_ieee_overflow 0
		.amdhsa_exception_fp_ieee_underflow 0
		.amdhsa_exception_fp_ieee_inexact 0
		.amdhsa_exception_int_div_zero 0
	.end_amdhsa_kernel
	.text
.Lfunc_end0:
	.size	fft_rtc_back_len408_factors_17_3_8_wgs_51_tpt_17_halfLds_sp_op_CI_CI_unitstride_sbrr_dirReg, .Lfunc_end0-fft_rtc_back_len408_factors_17_3_8_wgs_51_tpt_17_halfLds_sp_op_CI_CI_unitstride_sbrr_dirReg
                                        ; -- End function
	.section	.AMDGPU.csdata,"",@progbits
; Kernel info:
; codeLenInByte = 16116
; NumSgprs: 32
; NumVgprs: 113
; ScratchSize: 0
; MemoryBound: 0
; FloatMode: 240
; IeeeMode: 1
; LDSByteSize: 0 bytes/workgroup (compile time only)
; SGPRBlocks: 3
; VGPRBlocks: 28
; NumSGPRsForWavesPerEU: 32
; NumVGPRsForWavesPerEU: 113
; Occupancy: 2
; WaveLimiterHint : 1
; COMPUTE_PGM_RSRC2:SCRATCH_EN: 0
; COMPUTE_PGM_RSRC2:USER_SGPR: 6
; COMPUTE_PGM_RSRC2:TRAP_HANDLER: 0
; COMPUTE_PGM_RSRC2:TGID_X_EN: 1
; COMPUTE_PGM_RSRC2:TGID_Y_EN: 0
; COMPUTE_PGM_RSRC2:TGID_Z_EN: 0
; COMPUTE_PGM_RSRC2:TIDIG_COMP_CNT: 0
	.type	__hip_cuid_a8c6bbf0add6e4a3,@object ; @__hip_cuid_a8c6bbf0add6e4a3
	.section	.bss,"aw",@nobits
	.globl	__hip_cuid_a8c6bbf0add6e4a3
__hip_cuid_a8c6bbf0add6e4a3:
	.byte	0                               ; 0x0
	.size	__hip_cuid_a8c6bbf0add6e4a3, 1

	.ident	"AMD clang version 19.0.0git (https://github.com/RadeonOpenCompute/llvm-project roc-6.4.0 25133 c7fe45cf4b819c5991fe208aaa96edf142730f1d)"
	.section	".note.GNU-stack","",@progbits
	.addrsig
	.addrsig_sym __hip_cuid_a8c6bbf0add6e4a3
	.amdgpu_metadata
---
amdhsa.kernels:
  - .args:
      - .actual_access:  read_only
        .address_space:  global
        .offset:         0
        .size:           8
        .value_kind:     global_buffer
      - .offset:         8
        .size:           8
        .value_kind:     by_value
      - .actual_access:  read_only
        .address_space:  global
        .offset:         16
        .size:           8
        .value_kind:     global_buffer
      - .actual_access:  read_only
        .address_space:  global
        .offset:         24
        .size:           8
        .value_kind:     global_buffer
      - .actual_access:  read_only
        .address_space:  global
        .offset:         32
        .size:           8
        .value_kind:     global_buffer
      - .offset:         40
        .size:           8
        .value_kind:     by_value
      - .actual_access:  read_only
        .address_space:  global
        .offset:         48
        .size:           8
        .value_kind:     global_buffer
      - .actual_access:  read_only
        .address_space:  global
        .offset:         56
        .size:           8
        .value_kind:     global_buffer
      - .offset:         64
        .size:           4
        .value_kind:     by_value
      - .actual_access:  read_only
        .address_space:  global
        .offset:         72
        .size:           8
        .value_kind:     global_buffer
      - .actual_access:  read_only
        .address_space:  global
        .offset:         80
        .size:           8
        .value_kind:     global_buffer
      - .actual_access:  read_only
        .address_space:  global
        .offset:         88
        .size:           8
        .value_kind:     global_buffer
      - .actual_access:  write_only
        .address_space:  global
        .offset:         96
        .size:           8
        .value_kind:     global_buffer
    .group_segment_fixed_size: 0
    .kernarg_segment_align: 8
    .kernarg_segment_size: 104
    .language:       OpenCL C
    .language_version:
      - 2
      - 0
    .max_flat_workgroup_size: 51
    .name:           fft_rtc_back_len408_factors_17_3_8_wgs_51_tpt_17_halfLds_sp_op_CI_CI_unitstride_sbrr_dirReg
    .private_segment_fixed_size: 0
    .sgpr_count:     32
    .sgpr_spill_count: 0
    .symbol:         fft_rtc_back_len408_factors_17_3_8_wgs_51_tpt_17_halfLds_sp_op_CI_CI_unitstride_sbrr_dirReg.kd
    .uniform_work_group_size: 1
    .uses_dynamic_stack: false
    .vgpr_count:     113
    .vgpr_spill_count: 0
    .wavefront_size: 64
amdhsa.target:   amdgcn-amd-amdhsa--gfx906
amdhsa.version:
  - 1
  - 2
...

	.end_amdgpu_metadata
